;; amdgpu-corpus repo=zjin-lcf/HeCBench kind=compiled arch=gfx1250 opt=O3
	.amdgcn_target "amdgcn-amd-amdhsa--gfx1250"
	.amdhsa_code_object_version 6
	.text
	.protected	_Z13complex_floatPci    ; -- Begin function _Z13complex_floatPci
	.globl	_Z13complex_floatPci
	.p2align	8
	.type	_Z13complex_floatPci,@function
_Z13complex_floatPci:                   ; @_Z13complex_floatPci
; %bb.0:
	s_clause 0x1
	s_load_b32 s2, s[0:1], 0x1c
	s_load_b32 s3, s[0:1], 0x8
	s_bfe_u32 s4, ttmp6, 0x4000c
	s_and_b32 s5, ttmp6, 15
	s_add_co_i32 s4, s4, 1
	s_getreg_b32 s6, hwreg(HW_REG_IB_STS2, 6, 4)
	s_mul_i32 s4, ttmp9, s4
	s_delay_alu instid0(SALU_CYCLE_1) | instskip(SKIP_4) | instid1(SALU_CYCLE_1)
	s_add_co_i32 s5, s5, s4
	s_wait_kmcnt 0x0
	s_and_b32 s2, s2, 0xffff
	s_cmp_eq_u32 s6, 0
	s_cselect_b32 s4, ttmp9, s5
	v_mad_u32 v0, s4, s2, v0
	s_mov_b32 s2, exec_lo
	s_delay_alu instid0(VALU_DEP_1)
	v_cmpx_gt_i32_e64 s3, v0
	s_cbranch_execz .LBB0_8
; %bb.1:
	v_mov_b64_e32 v[2:3], 0x26f19d38e48e2826
	v_ashrrev_i32_e32 v1, 31, v0
	s_mov_b32 s6, exec_lo
	v_cmpx_ne_u32_e32 0, v0
	s_cbranch_execz .LBB0_7
; %bb.2:
	v_mov_b64_e32 v[2:3], 1
	v_mov_b64_e32 v[4:5], 0
	v_and_b32_e32 v7, 0x7fffffff, v1
	v_mov_b32_e32 v6, v0
	s_mov_b64 s[2:3], 0x26f19d38e48e2825
	s_mov_b32 s7, 0
	s_mov_b64 s[4:5], 1
	s_branch .LBB0_4
.LBB0_3:                                ;   in Loop: Header=BB0_4 Depth=1
	s_or_b32 exec_lo, exec_lo, s8
	v_lshrrev_b64 v[8:9], 1, v[6:7]
	v_cmp_gt_u64_e32 vcc_lo, 2, v[6:7]
	s_add_nc_u64 s[8:9], s[2:3], 1
	s_mul_u64 s[2:3], s[2:3], s[2:3]
	s_mul_u64 s[4:5], s[8:9], s[4:5]
	s_delay_alu instid0(VALU_DEP_2) | instskip(SKIP_1) | instid1(SALU_CYCLE_1)
	v_mov_b64_e32 v[6:7], v[8:9]
	s_or_b32 s7, vcc_lo, s7
	s_and_not1_b32 exec_lo, exec_lo, s7
	s_cbranch_execz .LBB0_6
.LBB0_4:                                ; =>This Inner Loop Header: Depth=1
	s_delay_alu instid0(VALU_DEP_1) | instskip(SKIP_1) | instid1(VALU_DEP_1)
	v_and_b32_e32 v8, 1, v6
	s_mov_b32 s8, exec_lo
	v_cmpx_eq_u32_e32 1, v8
	s_cbranch_execz .LBB0_3
; %bb.5:                                ;   in Loop: Header=BB0_4 Depth=1
	v_mad_nc_u64_u32 v[8:9], s2, v4, s[4:5]
	v_mul_u64_e32 v[2:3], s[2:3], v[2:3]
	s_delay_alu instid0(VALU_DEP_2) | instskip(NEXT) | instid1(VALU_DEP_1)
	v_mad_u32 v4, s3, v4, v9
	v_mad_u32 v9, s2, v5, v4
	s_delay_alu instid0(VALU_DEP_1)
	v_mov_b64_e32 v[4:5], v[8:9]
	s_branch .LBB0_3
.LBB0_6:
	s_or_b32 exec_lo, exec_lo, s7
	v_add_nc_u64_e32 v[4:5], v[4:5], v[2:3]
	s_delay_alu instid0(VALU_DEP_1) | instskip(NEXT) | instid1(VALU_DEP_1)
	v_mad_nc_u64_u32 v[2:3], 0xe48e2825, v4, 1
	v_mad_u32 v3, 0xe48e2825, v5, v3
	s_delay_alu instid0(VALU_DEP_1) | instskip(NEXT) | instid1(VALU_DEP_1)
	v_mad_u32 v3, 0x26f19d38, v4, v3
	v_and_b32_e32 v3, 0x7fffffff, v3
.LBB0_7:
	s_or_b32 exec_lo, exec_lo, s6
	s_delay_alu instid0(VALU_DEP_3) | instskip(SKIP_1) | instid1(VALU_DEP_2)
	v_mad_nc_u64_u32 v[4:5], 0xe48e2825, v2, 1
	s_mov_b64 s[2:3], 0x26f19d38e48e2826
	v_cvt_f64_u32_e32 v[8:9], v3
	s_load_b64 s[18:19], s[0:1], 0x0
	s_delay_alu instid0(VALU_DEP_2) | instskip(NEXT) | instid1(VALU_DEP_1)
	v_mad_u32 v5, 0xe48e2825, v3, v5
	v_mad_u32 v5, 0x26f19d38, v2, v5
	v_cvt_f64_u32_e32 v[2:3], v2
	s_wait_kmcnt 0x0
	v_add_nc_u64_e32 v[0:1], s[18:19], v[0:1]
	s_delay_alu instid0(VALU_DEP_3) | instskip(SKIP_2) | instid1(VALU_DEP_2)
	v_mul_u64_e32 v[6:7], 0x26f19d38e48e2825, v[4:5]
	v_and_b32_e32 v5, 0x7fffffff, v5
	v_ldexp_f64 v[8:9], v[8:9], 32
	v_cvt_f64_u32_e32 v[10:11], v5
	v_cvt_f64_u32_e32 v[4:5], v4
	v_mad_nc_u64_u32 v[12:13], 0xe48e2825, v6, s[2:3]
	s_delay_alu instid0(VALU_DEP_3) | instskip(NEXT) | instid1(VALU_DEP_2)
	v_ldexp_f64 v[10:11], v[10:11], 32
	v_mad_u32 v13, 0xe48e2825, v7, v13
	s_delay_alu instid0(VALU_DEP_1) | instskip(SKIP_1) | instid1(VALU_DEP_1)
	v_mad_u32 v13, 0x26f19d38, v6, v13
	v_add_nc_u64_e32 v[6:7], 1, v[6:7]
	v_and_b32_e32 v7, 0x7fffffff, v7
	s_delay_alu instid0(VALU_DEP_3) | instskip(NEXT) | instid1(VALU_DEP_2)
	v_and_b32_e32 v13, 0x7fffffff, v13
	v_cvt_f64_u32_e32 v[14:15], v7
	s_delay_alu instid0(VALU_DEP_4) | instskip(SKIP_1) | instid1(VALU_DEP_4)
	v_cvt_f64_u32_e32 v[6:7], v6
	v_add_f64_e32 v[4:5], v[10:11], v[4:5]
	v_cvt_f64_u32_e32 v[16:17], v13
	v_cvt_f64_u32_e32 v[10:11], v12
	s_delay_alu instid0(VALU_DEP_3) | instskip(NEXT) | instid1(VALU_DEP_3)
	v_ldexp_f64 v[4:5], v[4:5], 0xffffffc1
	v_ldexp_f64 v[12:13], v[16:17], 32
	s_delay_alu instid0(VALU_DEP_1) | instskip(NEXT) | instid1(VALU_DEP_3)
	v_add_f64_e32 v[12:13], v[12:13], v[10:11]
	v_cvt_f32_f64_e32 v10, v[4:5]
	v_add_f64_e32 v[2:3], v[8:9], v[2:3]
	v_ldexp_f64 v[8:9], v[14:15], 32
	s_delay_alu instid0(VALU_DEP_1) | instskip(NEXT) | instid1(VALU_DEP_1)
	v_add_f64_e32 v[6:7], v[8:9], v[6:7]
	v_ldexp_f64 v[4:5], v[6:7], 0xffffffc1
	v_ldexp_f64 v[6:7], v[12:13], 0xffffffc1
	v_mov_b32_e32 v13, v10
	v_ldexp_f64 v[2:3], v[2:3], 0xffffffc1
	s_delay_alu instid0(VALU_DEP_4) | instskip(NEXT) | instid1(VALU_DEP_4)
	v_cvt_f32_f64_e32 v9, v[4:5]
	v_cvt_f32_f64_e32 v11, v[6:7]
	s_delay_alu instid0(VALU_DEP_3) | instskip(NEXT) | instid1(VALU_DEP_2)
	v_cvt_f32_f64_e32 v8, v[2:3]
	v_mov_b32_e32 v14, v11
	v_xor_b32_e32 v21, 0x80000000, v11
	s_delay_alu instid0(VALU_DEP_3) | instskip(SKIP_1) | instid1(VALU_DEP_4)
	v_cmp_gt_f32_e32 vcc_lo, v8, v10
	v_dual_mov_b32 v12, v8 :: v_dual_mov_b32 v7, v8
	v_pk_add_f32 v[14:15], v[14:15], v[10:11] neg_lo:[0,1] neg_hi:[0,1]
	v_dual_mov_b32 v17, v11 :: v_dual_cndmask_b32 v2, v10, v8
	v_cndmask_b32_e32 v23, v8, v10, vcc_lo
	v_cmp_gt_f32_e32 vcc_lo, v9, v11
	v_mov_b32_e32 v20, v11
	s_delay_alu instid0(VALU_DEP_4) | instskip(NEXT) | instid1(VALU_DEP_4)
	v_cmp_eq_f32_e64 s0, 0, v2
	v_div_scale_f32 v3, null, v2, v2, v23
	v_div_scale_f32 v5, s5, v23, v2, v23
	v_max_num_f32_e32 v6, v2, v23
	s_delay_alu instid0(VALU_DEP_3) | instskip(NEXT) | instid1(VALU_DEP_1)
	v_rcp_f32_e32 v24, v3
	v_cmp_lt_f32_e64 s1, 0x7f7fffff, v6
	v_mov_b32_e32 v6, v9
	s_delay_alu instid0(TRANS32_DEP_1) | instskip(SKIP_1) | instid1(VALU_DEP_2)
	v_fma_f32 v4, -v3, v24, 1.0
	s_or_b32 s0, s1, s0
	v_pk_mul_f32 v[18:19], v[6:7], v[10:11]
	v_pk_add_f32 v[6:7], v[8:9], v[10:11]
	s_delay_alu instid0(VALU_DEP_3) | instskip(NEXT) | instid1(VALU_DEP_2)
	v_fmac_f32_e32 v24, v4, v24
	v_div_scale_f32 v34, null, v7, v7, 1.0
	s_delay_alu instid0(VALU_DEP_2) | instskip(SKIP_1) | instid1(VALU_DEP_2)
	v_mul_f32_e32 v26, v5, v24
	v_div_scale_f32 v35, s11, 1.0, v7, 1.0
	v_fma_f32 v4, -v3, v26, v5
	s_delay_alu instid0(VALU_DEP_1) | instskip(SKIP_1) | instid1(VALU_DEP_2)
	v_dual_fmac_f32 v26, v4, v24 :: v_dual_mov_b32 v16, v9
	v_sub_f32_e64 v4, -v11, v10
	v_fma_f32 v32, -v3, v26, v5
	s_delay_alu instid0(VALU_DEP_3)
	v_pk_mul_f32 v[28:29], v[12:13], v[16:17]
	v_add_f32_e32 v33, v18, v19
	v_pk_add_f32 v[30:31], v[12:13], v[16:17]
	v_pk_add_f32 v[12:13], v[12:13], v[16:17] neg_lo:[0,1] neg_hi:[0,1]
	v_cndmask_b32_e32 v3, v11, v9, vcc_lo
	v_dual_sub_f32 v36, v28, v29 :: v_dual_cndmask_b32 v11, v9, v11
	s_delay_alu instid0(VALU_DEP_4) | instskip(SKIP_2) | instid1(VALU_DEP_4)
	v_mov_b32_e32 v18, v31
	v_cmp_gt_f32_e64 s3, |v30|, |v31|
	v_cmp_gt_f32_e64 s6, |v12|, |v13|
	;; [unrolled: 1-line block ×3, first 2 shown]
	v_add_f32_e64 v25, |v36|, |v33|
	v_div_scale_f32 v37, null, v3, v3, v11
	v_cndmask_b32_e64 v17, |v31|, |v30|, s3
	s_delay_alu instid0(VALU_DEP_4)
	v_cndmask_b32_e64 v27, |v33|, |v36|, s7
	v_cndmask_b32_e64 v33, |v36|, |v33|, s7
	v_add_f32_e64 v5, |v30|, |v31|
	v_cndmask_b32_e64 v19, |v13|, |v12|, s6
	v_add_f32_e32 v28, v28, v29
	v_rcp_f32_e32 v29, v34
	v_cndmask_b32_e64 v31, |v30|, |v31|, s3
	v_cndmask_b32_e64 v40, |v12|, |v13|, s6
	v_div_scale_f32 v46, null, v27, v27, v33
	v_dual_max_num_f32 v22, v3, v11 :: v_dual_mov_b32 v16, v13
	v_rcp_f32_e32 v39, v37
	v_div_scale_f32 v36, null, v17, v17, v31
	v_div_scale_f32 v43, null, v19, v19, v40
	v_rcp_f32_e32 v48, v46
	v_add_f32_e64 v15, |v12|, |v13|
	v_cmp_lt_f32_e64 s4, 0x7f7fffff, v22
	v_dual_mov_b32 v13, v30 :: v_dual_add_f32 v22, v28, v28
	v_max_num_f32_e32 v42, v17, v31
	v_fma_f32 v30, -v34, v29, 1.0
	v_rcp_f32_e32 v49, v36
	v_rcp_f32_e32 v50, v43
	v_max_num_f32_e32 v45, v19, v40
	v_dual_fmac_f32 v22, -2.0, v28 :: v_dual_max_num_f32 v47, v27, v33
	v_fma_f32 v28, -v37, v39, 1.0
	v_fmac_f32_e32 v29, v30, v29
	v_cmp_lt_f32_e64 s7, 0x7f7fffff, v42
	v_fma_f32 v42, -v46, v48, 1.0
	v_div_scale_f32 v38, s12, v11, v3, v11
	v_div_scale_f32 v30, vcc_lo, v33, v27, v33
	v_cmp_lt_f32_e64 s6, 0x7f7fffff, v45
	v_dual_fmac_f32 v39, v28, v39 :: v_dual_mul_f32 v28, v35, v29
	v_fma_f32 v45, -v36, v49, 1.0
	v_fma_f32 v51, -v43, v50, 1.0
	v_fmac_f32_e32 v48, v42, v48
	v_div_scale_f32 v41, s13, v31, v17, v31
	v_div_scale_f32 v44, s14, v40, v19, v40
	v_cmp_lt_f32_e64 s8, 0x7f7fffff, v47
	v_dual_mul_f32 v47, v38, v39 :: v_dual_fmac_f32 v49, v45, v49
	v_dual_fmac_f32 v50, v51, v50 :: v_dual_fma_f32 v42, -v34, v28, v35
	s_delay_alu instid0(VALU_DEP_2) | instskip(NEXT) | instid1(VALU_DEP_2)
	v_dual_mul_f32 v51, v30, v48 :: v_dual_fma_f32 v45, -v37, v47, v38
	v_dual_mul_f32 v52, v41, v49 :: v_dual_mul_f32 v53, v44, v50
	s_delay_alu instid0(VALU_DEP_3) | instskip(NEXT) | instid1(VALU_DEP_3)
	v_fmac_f32_e32 v28, v42, v29
	v_fma_f32 v42, -v46, v51, v30
	s_delay_alu instid0(VALU_DEP_3) | instskip(NEXT) | instid1(VALU_DEP_4)
	v_dual_fmac_f32 v47, v45, v39 :: v_dual_fma_f32 v45, -v36, v52, v41
	v_fma_f32 v54, -v43, v53, v44
	v_cmp_eq_f32_e64 s10, 0, v27
	s_delay_alu instid0(VALU_DEP_4) | instskip(SKIP_1) | instid1(VALU_DEP_4)
	v_fmac_f32_e32 v51, v42, v48
	v_cmp_eq_f32_e64 s2, 0, v3
	v_dual_fmac_f32 v52, v45, v49 :: v_dual_fmac_f32 v53, v54, v50
	v_fma_f32 v34, -v34, v28, v35
	s_delay_alu instid0(VALU_DEP_4) | instskip(NEXT) | instid1(VALU_DEP_3)
	v_fma_f32 v30, -v46, v51, v30
	v_dual_fma_f32 v35, -v37, v47, v38 :: v_dual_fma_f32 v36, -v36, v52, v41
	s_delay_alu instid0(VALU_DEP_4) | instskip(SKIP_1) | instid1(VALU_DEP_4)
	v_fma_f32 v37, -v43, v53, v44
	v_cmp_eq_f32_e64 s3, 0, v17
	v_div_fmas_f32 v30, v30, v48, v51
	s_mov_b32 vcc_lo, s5
	v_cmp_eq_f32_e64 s9, 0, v19
	v_div_fmas_f32 v24, v32, v24, v26
	s_mov_b32 vcc_lo, s12
	v_div_fixup_f32 v30, v30, v27, v33
	v_div_fmas_f32 v26, v35, v39, v47
	s_mov_b32 vcc_lo, s13
	v_div_fixup_f32 v23, v24, v2, v23
	;; [unrolled: 3-line block ×3, first 2 shown]
	v_div_fmas_f32 v24, v37, v50, v53
	s_mov_b32 vcc_lo, s11
	v_fma_f32 v26, v30, v30, 1.0
	v_div_fmas_f32 v28, v34, v29, v28
	v_div_fixup_f32 v29, v32, v17, v31
	v_fma_f32 v23, v23, v23, 1.0
	v_div_fixup_f32 v30, v24, v19, v40
	v_fma_f32 v11, v11, v11, 1.0
	v_mul_f32_e32 v31, 0x4f800000, v26
	v_div_fixup_f32 v24, v28, v7, 1.0
	v_cmp_gt_f32_e64 s5, 0xf800000, v26
	v_fma_f32 v28, v29, v29, 1.0
	v_fma_f32 v30, v30, v30, 1.0
	v_mul_f32_e32 v32, 0x4f800000, v11
	s_delay_alu instid0(VALU_DEP_4) | instskip(SKIP_4) | instid1(VALU_DEP_4)
	v_dual_mul_f32 v10, v24, -v10 :: v_dual_cndmask_b32 v31, v26, v31, s5
	v_pk_mul_f32 v[8:9], v[24:25], v[8:9] op_sel_hi:[0,1]
	v_mul_f32_e32 v29, 0x4f800000, v23
	v_cmp_gt_f32_e64 s11, 0xf800000, v23
	v_pk_mul_f32 v[20:21], v[24:25], v[20:21] op_sel_hi:[0,1]
	v_dual_mul_f32 v33, 0x4f800000, v28 :: v_dual_mul_f32 v26, v9, v9
	v_cmp_gt_f32_e64 s12, 0xf800000, v11
	v_mul_f32_e32 v24, v10, v9
	v_cmp_gt_f32_e64 s13, 0xf800000, v28
	v_cmp_gt_f32_e64 s14, 0xf800000, v30
	v_cndmask_b32_e64 v23, v23, v29, s11
	v_mul_f32_e32 v29, 0x4f800000, v30
	s_delay_alu instid0(VALU_DEP_4) | instskip(SKIP_2) | instid1(VALU_DEP_3)
	v_dual_cndmask_b32 v32, v11, v32, s12 :: v_dual_cndmask_b32 v33, v28, v33, s13
	v_sqrt_f32_e32 v34, v31
	v_pk_mul_f32 v[10:11], v[10:11], v[20:21] op_sel_hi:[0,1]
	v_cndmask_b32_e64 v30, v30, v29, s14
	v_pk_fma_f32 v[28:29], v[20:21], v[20:21], v[26:27] op_sel_hi:[1,1,0]
	v_sqrt_f32_e32 v35, v23
	v_sqrt_f32_e32 v36, v32
	v_pk_fma_f32 v[10:11], v[8:9], v[8:9], v[10:11] op_sel:[0,1,0] op_sel_hi:[0,1,1]
	v_pk_fma_f32 v[8:9], v[8:9], v[20:21], v[24:25] op_sel_hi:[0,1,0] neg_lo:[1,0,0] neg_hi:[1,0,0]
	v_div_scale_f32 v26, null, v29, v29, 1.0
	v_div_scale_f32 v37, null, v28, v28, 1.0
	v_sqrt_f32_e32 v20, v33
	s_delay_alu instid0(VALU_DEP_2) | instskip(SKIP_1) | instid1(VALU_DEP_2)
	v_rcp_f32_e32 v41, v26
	v_dual_add_nc_u32 v21, -1, v34 :: v_dual_add_nc_u32 v24, 1, v34
	v_rcp_f32_e32 v42, v37
	v_div_scale_f32 v43, vcc_lo, 1.0, v29, 1.0
	v_dual_add_nc_u32 v39, -1, v35 :: v_dual_add_nc_u32 v45, -1, v36
	s_delay_alu instid0(TRANS32_DEP_2) | instskip(SKIP_1) | instid1(TRANS32_DEP_1)
	v_fma_f32 v46, -v26, v41, 1.0
	v_fma_f32 v50, -v24, v34, v31
	v_fma_f32 v48, -v37, v42, 1.0
	v_add_nc_u32_e32 v40, 1, v35
	v_div_scale_f32 v44, s15, 1.0, v28, 1.0
	v_dual_fmac_f32 v41, v46, v41 :: v_dual_add_nc_u32 v47, 1, v36
	v_dual_fma_f32 v49, -v21, v34, v31 :: v_dual_add_nc_u32 v46, -1, v20
	v_fmac_f32_e32 v42, v48, v42
	v_sqrt_f32_e32 v38, v30
	s_delay_alu instid0(VALU_DEP_3) | instskip(SKIP_1) | instid1(VALU_DEP_3)
	v_dual_mul_f32 v52, v43, v41 :: v_dual_fma_f32 v53, -v40, v35, v23
	v_dual_add_nc_u32 v48, 1, v20 :: v_dual_fma_f32 v51, -v39, v35, v23
	v_mul_f32_e32 v54, v44, v42
	v_cmp_ge_f32_e64 s16, 0, v49
	s_delay_alu instid0(TRANS32_DEP_1) | instid1(VALU_DEP_4)
	v_dual_fma_f32 v49, -v26, v52, v43 :: v_dual_add_nc_u32 v55, -1, v38
	s_delay_alu instid0(VALU_DEP_2) | instskip(SKIP_2) | instid1(VALU_DEP_4)
	v_cndmask_b32_e64 v21, v34, v21, s16
	v_cmp_ge_f32_e64 s16, 0, v51
	v_fma_f32 v34, -v37, v54, v44
	v_dual_fmac_f32 v52, v49, v41 :: v_dual_add_nc_u32 v51, 1, v38
	s_delay_alu instid0(VALU_DEP_3) | instskip(NEXT) | instid1(VALU_DEP_3)
	v_dual_cndmask_b32 v35, v35, v39, s16 :: v_dual_fma_f32 v49, -v45, v36, v32
	v_fmac_f32_e32 v54, v34, v42
	s_delay_alu instid0(VALU_DEP_3) | instskip(SKIP_1) | instid1(VALU_DEP_3)
	v_fma_f32 v26, -v26, v52, v43
	v_dual_fma_f32 v39, -v46, v20, v33 :: v_dual_fma_f32 v43, -v48, v20, v33
	v_fma_f32 v37, -v37, v54, v44
	s_delay_alu instid0(VALU_DEP_3) | instskip(SKIP_1) | instid1(VALU_DEP_2)
	v_div_fmas_f32 v26, v26, v41, v52
	s_mov_b32 vcc_lo, s15
	v_div_fmas_f32 v37, v37, v42, v54
	v_cmp_ge_f32_e32 vcc_lo, 0, v49
	v_fma_f32 v34, -v47, v36, v32
	v_div_fixup_f32 v29, v26, v29, 1.0
	s_delay_alu instid0(VALU_DEP_4)
	v_div_fixup_f32 v28, v37, v28, 1.0
	v_cndmask_b32_e32 v36, v36, v45, vcc_lo
	v_cmp_lt_f32_e32 vcc_lo, 0, v50
	v_dual_fma_f32 v44, -v55, v38, v30 :: v_dual_cndmask_b32 v24, v21, v24, vcc_lo
	v_cmp_ge_f32_e32 vcc_lo, 0, v39
	v_cndmask_b32_e32 v26, v20, v46, vcc_lo
	v_cmp_lt_f32_e32 vcc_lo, 0, v53
	v_pk_mul_f32 v[20:21], v[10:11], v[28:29]
	v_pk_mul_f32 v[10:11], v[8:9], v[28:29]
	v_cndmask_b32_e32 v35, v35, v40, vcc_lo
	v_cmp_ge_f32_e32 vcc_lo, 0, v44
	v_fma_f32 v41, -v51, v38, v30
	s_delay_alu instid0(VALU_DEP_4) | instskip(SKIP_2) | instid1(VALU_DEP_3)
	v_cmp_gt_f32_e64 s15, |v21|, |v11|
	v_cndmask_b32_e32 v28, v38, v55, vcc_lo
	v_cmp_lt_f32_e32 vcc_lo, 0, v34
	v_cndmask_b32_e64 v39, v21, v11, s15
	v_dual_mul_f32 v34, 0x37800000, v24 :: v_dual_cndmask_b32 v29, v36, v47
	v_cmp_gt_f32_e64 vcc_lo, |v20|, |v10|
	v_cndmask_b32_e64 v36, v11, v21, s15
	s_delay_alu instid0(VALU_DEP_4) | instskip(SKIP_2) | instid1(VALU_DEP_4)
	v_and_b32_e32 v42, 0x7fffffff, v39
	v_and_b32_e32 v11, 0x7fffffff, v11
	v_dual_cndmask_b32 v37, v10, v20 :: v_dual_cndmask_b32 v38, v20, v10
	v_and_b32_e32 v9, 0x7fffffff, v36
	v_cmp_lt_f32_e32 vcc_lo, 0, v43
	v_mul_f32_e32 v43, 0x37800000, v35
	s_delay_alu instid0(VALU_DEP_4) | instskip(SKIP_4) | instid1(VALU_DEP_4)
	v_and_b32_e32 v8, 0x7fffffff, v37
	v_and_b32_e32 v40, 0x7fffffff, v38
	v_div_scale_f32 v45, null, v9, v9, v42
	v_cndmask_b32_e32 v26, v26, v48, vcc_lo
	v_cmp_lt_f32_e32 vcc_lo, 0, v41
	v_div_scale_f32 v44, null, v8, v8, v40
	s_delay_alu instid0(VALU_DEP_4) | instskip(SKIP_1) | instid1(VALU_DEP_2)
	v_rcp_f32_e32 v47, v45
	v_dual_cndmask_b32 v24, v24, v34, s5 :: v_dual_cndmask_b32 v35, v35, v43, s11
	v_rcp_f32_e32 v46, v44
	v_dual_cndmask_b32 v41, v28, v51 :: v_dual_mul_f32 v28, 0x37800000, v29
	v_mul_f32_e32 v34, 0x37800000, v26
	v_div_scale_f32 v42, s5, v42, v9, v42
	s_delay_alu instid0(VALU_DEP_3) | instskip(NEXT) | instid1(TRANS32_DEP_1)
	v_mul_f32_e32 v43, 0x37800000, v41
	v_fma_f32 v48, -v44, v46, 1.0
	v_cndmask_b32_e64 v29, v29, v28, s12
	v_fma_f32 v28, -v45, v47, 1.0
	v_cmp_class_f32_e64 s11, v31, 0x260
	v_div_scale_f32 v40, vcc_lo, v40, v8, v40
	v_fmac_f32_e32 v46, v48, v46
	s_delay_alu instid0(VALU_DEP_4) | instskip(SKIP_2) | instid1(VALU_DEP_3)
	v_dual_fmac_f32 v47, v28, v47 :: v_dual_cndmask_b32 v26, v26, v34, s13
	v_and_b32_e32 v10, 0x7fffffff, v10
	v_cmp_eq_f32_e64 s1, |v36|, 0
	v_mul_f32_e32 v34, v42, v47
	v_cndmask_b32_e64 v24, v24, v31, s11
	v_cmp_class_f32_e64 s11, v23, 0x260
	s_delay_alu instid0(VALU_DEP_1) | instskip(SKIP_1) | instid1(VALU_DEP_1)
	v_dual_mul_f32 v31, v40, v46 :: v_dual_cndmask_b32 v28, v35, v23, s11
	v_cmp_class_f32_e64 s11, v32, 0x260
	v_cndmask_b32_e64 v29, v29, v32, s11
	v_cmp_class_f32_e64 s11, v33, 0x260
	s_delay_alu instid0(VALU_DEP_4) | instskip(SKIP_3) | instid1(VALU_DEP_4)
	v_fma_f32 v23, -v44, v31, v40
	v_cndmask_b32_e64 v35, v41, v43, s14
	v_fma_f32 v41, -v45, v34, v42
	v_pk_mul_f32 v[2:3], v[2:3], v[28:29]
	v_fmac_f32_e32 v31, v23, v46
	s_delay_alu instid0(VALU_DEP_3) | instskip(SKIP_2) | instid1(VALU_DEP_4)
	v_dual_mul_f32 v23, v27, v24 :: v_dual_fmac_f32 v34, v41, v47
	v_cndmask_b32_e64 v24, v26, v33, s11
	v_cmp_class_f32_e64 s11, v30, 0x260
	v_dual_fma_f32 v26, -v44, v31, v40 :: v_dual_cndmask_b32 v6, v2, v6, s0
	v_cmp_gt_f32_e64 s0, 0x3a83126f, |v22|
	s_delay_alu instid0(VALU_DEP_3) | instskip(SKIP_1) | instid1(VALU_DEP_4)
	v_cndmask_b32_e64 v27, v35, v30, s11
	v_fma_f32 v30, -v45, v34, v42
	v_div_fmas_f32 v26, v26, v46, v31
	s_mov_b32 vcc_lo, s5
	v_mul_f32_e32 v17, v17, v24
	v_cndmask_b32_e64 v22, 0, 1, s0
	v_div_fmas_f32 v28, v30, v47, v34
	v_div_fixup_f32 v26, v26, |v37|, |v38|
	s_or_b32 vcc_lo, s8, s10
	v_cndmask_b32_e32 v23, v23, v25, vcc_lo
	s_or_b32 vcc_lo, s4, s2
	v_div_fixup_f32 v24, v28, |v36|, |v39|
	v_mul_f32_e32 v25, v19, v27
	v_fma_f32 v26, v26, v26, 1.0
	v_cndmask_b32_e32 v7, v3, v7, vcc_lo
	s_or_b32 vcc_lo, s7, s3
	v_fma_f32 v3, v24, v24, 1.0
	v_cndmask_b32_e32 v19, v17, v5, vcc_lo
	s_or_b32 vcc_lo, s6, s9
	v_dual_mul_f32 v24, 0x4f800000, v26 :: v_dual_cndmask_b32 v17, v25, v15
	v_cmp_gt_f32_e32 vcc_lo, 0xf800000, v26
	v_mul_f32_e32 v15, 0x4f800000, v3
	v_mov_b32_e32 v5, v19
	v_cmp_gt_f32_e64 s2, 0xf800000, v3
	v_cmp_eq_f32_e64 s3, |v37|, 0
	s_delay_alu instid0(VALU_DEP_2) | instskip(SKIP_2) | instid1(VALU_DEP_3)
	v_dual_cndmask_b32 v24, v26, v24, vcc_lo :: v_dual_cndmask_b32 v25, v3, v15, s2
	v_mov_b32_e32 v15, v17
	v_pk_mul_f32 v[2:3], v[18:19], v[4:5]
	v_sqrt_f32_e32 v18, v24
	v_fma_f32 v23, -v6, v7, v23
	v_sqrt_f32_e32 v19, v25
	v_pk_mul_f32 v[4:5], v[16:17], v[14:15]
	v_mov_b32_e32 v7, v2
	v_and_b32_e32 v15, 0x7fffffff, v21
	v_and_b32_e32 v14, 0x7fffffff, v20
	v_dual_add_nc_u32 v2, -1, v18 :: v_dual_add_nc_u32 v16, 1, v18
	s_delay_alu instid0(TRANS32_DEP_1) | instskip(NEXT) | instid1(VALU_DEP_2)
	v_dual_add_nc_u32 v17, 1, v19 :: v_dual_add_nc_u32 v6, -1, v19
	v_dual_fma_f32 v21, -v2, v18, v24 :: v_dual_fma_f32 v26, -v16, v18, v24
	s_delay_alu instid0(VALU_DEP_2) | instskip(NEXT) | instid1(VALU_DEP_2)
	v_dual_fma_f32 v27, -v17, v19, v25 :: v_dual_fma_f32 v20, -v6, v19, v25
	v_cmp_ge_f32_e64 s0, 0, v21
	s_delay_alu instid0(VALU_DEP_1) | instskip(NEXT) | instid1(VALU_DEP_3)
	v_cndmask_b32_e64 v2, v18, v2, s0
	v_cmp_ge_f32_e64 s0, 0, v20
	s_delay_alu instid0(VALU_DEP_1) | instskip(SKIP_1) | instid1(VALU_DEP_1)
	v_cndmask_b32_e64 v6, v19, v6, s0
	v_cmp_lt_f32_e64 s0, 0, v26
	v_cndmask_b32_e64 v16, v2, v16, s0
	v_cmp_lt_f32_e64 s0, 0, v27
	s_delay_alu instid0(VALU_DEP_1) | instskip(SKIP_1) | instid1(VALU_DEP_4)
	v_dual_mov_b32 v2, v5 :: v_dual_cndmask_b32 v17, v6, v17, s0
	v_mov_b32_e32 v6, v4
	v_mul_f32_e32 v4, 0x37800000, v16
	s_delay_alu instid0(VALU_DEP_3) | instskip(NEXT) | instid1(VALU_DEP_2)
	v_mul_f32_e32 v18, 0x37800000, v17
	v_cndmask_b32_e32 v16, v16, v4, vcc_lo
	s_delay_alu instid0(VALU_DEP_4) | instskip(SKIP_1) | instid1(VALU_DEP_4)
	v_pk_fma_f32 v[4:5], v[12:13], v[12:13], v[6:7] neg_lo:[1,0,0] neg_hi:[1,0,0]
	v_cmp_class_f32_e64 vcc_lo, v24, 0x260
	v_cndmask_b32_e64 v7, v17, v18, s2
	v_max_num_f32_e64 v12, |v36|, |v39|
	v_max_num_f32_e64 v13, |v37|, |v38|
	v_pk_add_f32 v[2:3], v[4:5], v[2:3]
	v_pk_add_f32 v[4:5], v[14:15], v[10:11]
	v_cndmask_b32_e32 v6, v16, v24, vcc_lo
	v_cmp_class_f32_e64 vcc_lo, v25, 0x260
	v_cmp_lt_f32_e64 s0, 0x7f7fffff, v13
	v_cmp_gt_f32_e64 s2, 0x3a83126f, |v3|
	v_cndmask_b32_e32 v7, v7, v25, vcc_lo
	v_cmp_lt_f32_e32 vcc_lo, 0x7f7fffff, v12
	s_delay_alu instid0(VALU_DEP_3) | instskip(NEXT) | instid1(VALU_DEP_3)
	v_cndmask_b32_e64 v3, 0, 1, s2
	v_pk_mul_f32 v[6:7], v[8:9], v[6:7]
	s_or_b32 vcc_lo, vcc_lo, s1
	s_delay_alu instid0(VALU_DEP_2) | instskip(NEXT) | instid1(VALU_DEP_2)
	v_add_nc_u16 v3, v3, v22
	v_cndmask_b32_e32 v5, v7, v5, vcc_lo
	s_or_b32 vcc_lo, s0, s3
	v_cmp_gt_f32_e64 s0, 0x3a83126f, |v23|
	v_cndmask_b32_e32 v4, v6, v4, vcc_lo
	s_delay_alu instid0(VALU_DEP_2) | instskip(NEXT) | instid1(VALU_DEP_2)
	v_cndmask_b32_e64 v6, 0, 1, s0
	v_sub_f32_e32 v4, v4, v5
	v_cmp_gt_f32_e64 s0, 0x3a83126f, |v2|
	s_delay_alu instid0(VALU_DEP_3) | instskip(NEXT) | instid1(VALU_DEP_2)
	v_add_nc_u16 v3, v3, v6
	v_cndmask_b32_e64 v2, 0, 1, s0
	s_delay_alu instid0(VALU_DEP_4) | instskip(NEXT) | instid1(VALU_DEP_2)
	v_cmp_gt_f32_e64 s0, 0x3a83126f, |v4|
	v_add_nc_u16 v2, v3, v2
	s_delay_alu instid0(VALU_DEP_2) | instskip(NEXT) | instid1(VALU_DEP_1)
	v_cndmask_b32_e64 v4, 0, 1, s0
	v_add_nc_u16 v2, v2, v4
	global_store_b8 v[0:1], v2, off
.LBB0_8:
	s_endpgm
	.section	.rodata,"a",@progbits
	.p2align	6, 0x0
	.amdhsa_kernel _Z13complex_floatPci
		.amdhsa_group_segment_fixed_size 0
		.amdhsa_private_segment_fixed_size 0
		.amdhsa_kernarg_size 272
		.amdhsa_user_sgpr_count 2
		.amdhsa_user_sgpr_dispatch_ptr 0
		.amdhsa_user_sgpr_queue_ptr 0
		.amdhsa_user_sgpr_kernarg_segment_ptr 1
		.amdhsa_user_sgpr_dispatch_id 0
		.amdhsa_user_sgpr_kernarg_preload_length 0
		.amdhsa_user_sgpr_kernarg_preload_offset 0
		.amdhsa_user_sgpr_private_segment_size 0
		.amdhsa_wavefront_size32 1
		.amdhsa_uses_dynamic_stack 0
		.amdhsa_enable_private_segment 0
		.amdhsa_system_sgpr_workgroup_id_x 1
		.amdhsa_system_sgpr_workgroup_id_y 0
		.amdhsa_system_sgpr_workgroup_id_z 0
		.amdhsa_system_sgpr_workgroup_info 0
		.amdhsa_system_vgpr_workitem_id 0
		.amdhsa_next_free_vgpr 56
		.amdhsa_next_free_sgpr 20
		.amdhsa_named_barrier_count 0
		.amdhsa_reserve_vcc 1
		.amdhsa_float_round_mode_32 0
		.amdhsa_float_round_mode_16_64 0
		.amdhsa_float_denorm_mode_32 3
		.amdhsa_float_denorm_mode_16_64 3
		.amdhsa_fp16_overflow 0
		.amdhsa_memory_ordered 1
		.amdhsa_forward_progress 1
		.amdhsa_inst_pref_size 27
		.amdhsa_round_robin_scheduling 0
		.amdhsa_exception_fp_ieee_invalid_op 0
		.amdhsa_exception_fp_denorm_src 0
		.amdhsa_exception_fp_ieee_div_zero 0
		.amdhsa_exception_fp_ieee_overflow 0
		.amdhsa_exception_fp_ieee_underflow 0
		.amdhsa_exception_fp_ieee_inexact 0
		.amdhsa_exception_int_div_zero 0
	.end_amdhsa_kernel
	.text
.Lfunc_end0:
	.size	_Z13complex_floatPci, .Lfunc_end0-_Z13complex_floatPci
                                        ; -- End function
	.set _Z13complex_floatPci.num_vgpr, 56
	.set _Z13complex_floatPci.num_agpr, 0
	.set _Z13complex_floatPci.numbered_sgpr, 20
	.set _Z13complex_floatPci.num_named_barrier, 0
	.set _Z13complex_floatPci.private_seg_size, 0
	.set _Z13complex_floatPci.uses_vcc, 1
	.set _Z13complex_floatPci.uses_flat_scratch, 0
	.set _Z13complex_floatPci.has_dyn_sized_stack, 0
	.set _Z13complex_floatPci.has_recursion, 0
	.set _Z13complex_floatPci.has_indirect_call, 0
	.section	.AMDGPU.csdata,"",@progbits
; Kernel info:
; codeLenInByte = 3380
; TotalNumSgprs: 22
; NumVgprs: 56
; ScratchSize: 0
; MemoryBound: 0
; FloatMode: 240
; IeeeMode: 1
; LDSByteSize: 0 bytes/workgroup (compile time only)
; SGPRBlocks: 0
; VGPRBlocks: 3
; NumSGPRsForWavesPerEU: 22
; NumVGPRsForWavesPerEU: 56
; NamedBarCnt: 0
; Occupancy: 16
; WaveLimiterHint : 0
; COMPUTE_PGM_RSRC2:SCRATCH_EN: 0
; COMPUTE_PGM_RSRC2:USER_SGPR: 2
; COMPUTE_PGM_RSRC2:TRAP_HANDLER: 0
; COMPUTE_PGM_RSRC2:TGID_X_EN: 1
; COMPUTE_PGM_RSRC2:TGID_Y_EN: 0
; COMPUTE_PGM_RSRC2:TGID_Z_EN: 0
; COMPUTE_PGM_RSRC2:TIDIG_COMP_CNT: 0
	.text
	.protected	_Z14complex_doublePci   ; -- Begin function _Z14complex_doublePci
	.globl	_Z14complex_doublePci
	.p2align	8
	.type	_Z14complex_doublePci,@function
_Z14complex_doublePci:                  ; @_Z14complex_doublePci
; %bb.0:
	s_clause 0x1
	s_load_b32 s2, s[0:1], 0x1c
	s_load_b32 s3, s[0:1], 0x8
	s_bfe_u32 s4, ttmp6, 0x4000c
	s_and_b32 s5, ttmp6, 15
	s_add_co_i32 s4, s4, 1
	s_getreg_b32 s6, hwreg(HW_REG_IB_STS2, 6, 4)
	s_mul_i32 s4, ttmp9, s4
	s_delay_alu instid0(SALU_CYCLE_1) | instskip(SKIP_4) | instid1(SALU_CYCLE_1)
	s_add_co_i32 s5, s5, s4
	s_wait_kmcnt 0x0
	s_and_b32 s2, s2, 0xffff
	s_cmp_eq_u32 s6, 0
	s_cselect_b32 s4, ttmp9, s5
	v_mad_u32 v0, s4, s2, v0
	s_mov_b32 s2, exec_lo
	s_delay_alu instid0(VALU_DEP_1)
	v_cmpx_gt_i32_e64 s3, v0
	s_cbranch_execz .LBB1_8
; %bb.1:
	v_mov_b64_e32 v[2:3], 0x26f19d38e48e2826
	v_ashrrev_i32_e32 v1, 31, v0
	s_mov_b32 s6, exec_lo
	v_cmpx_ne_u32_e32 0, v0
	s_cbranch_execz .LBB1_7
; %bb.2:
	v_mov_b64_e32 v[2:3], 1
	v_mov_b64_e32 v[4:5], 0
	v_and_b32_e32 v7, 0x7fffffff, v1
	v_mov_b32_e32 v6, v0
	s_mov_b64 s[2:3], 0x26f19d38e48e2825
	s_mov_b32 s7, 0
	s_mov_b64 s[4:5], 1
	s_branch .LBB1_4
.LBB1_3:                                ;   in Loop: Header=BB1_4 Depth=1
	s_or_b32 exec_lo, exec_lo, s8
	v_lshrrev_b64 v[8:9], 1, v[6:7]
	v_cmp_gt_u64_e32 vcc_lo, 2, v[6:7]
	s_add_nc_u64 s[8:9], s[2:3], 1
	s_mul_u64 s[2:3], s[2:3], s[2:3]
	s_mul_u64 s[4:5], s[8:9], s[4:5]
	s_delay_alu instid0(VALU_DEP_2) | instskip(SKIP_1) | instid1(SALU_CYCLE_1)
	v_mov_b64_e32 v[6:7], v[8:9]
	s_or_b32 s7, vcc_lo, s7
	s_and_not1_b32 exec_lo, exec_lo, s7
	s_cbranch_execz .LBB1_6
.LBB1_4:                                ; =>This Inner Loop Header: Depth=1
	s_delay_alu instid0(VALU_DEP_1) | instskip(SKIP_1) | instid1(VALU_DEP_1)
	v_and_b32_e32 v8, 1, v6
	s_mov_b32 s8, exec_lo
	v_cmpx_eq_u32_e32 1, v8
	s_cbranch_execz .LBB1_3
; %bb.5:                                ;   in Loop: Header=BB1_4 Depth=1
	v_mad_nc_u64_u32 v[8:9], s2, v4, s[4:5]
	v_mul_u64_e32 v[2:3], s[2:3], v[2:3]
	s_delay_alu instid0(VALU_DEP_2) | instskip(NEXT) | instid1(VALU_DEP_1)
	v_mad_u32 v4, s3, v4, v9
	v_mad_u32 v9, s2, v5, v4
	s_delay_alu instid0(VALU_DEP_1)
	v_mov_b64_e32 v[4:5], v[8:9]
	s_branch .LBB1_3
.LBB1_6:
	s_or_b32 exec_lo, exec_lo, s7
	v_add_nc_u64_e32 v[4:5], v[4:5], v[2:3]
	s_delay_alu instid0(VALU_DEP_1) | instskip(NEXT) | instid1(VALU_DEP_1)
	v_mad_nc_u64_u32 v[2:3], 0xe48e2825, v4, 1
	v_mad_u32 v3, 0xe48e2825, v5, v3
	s_delay_alu instid0(VALU_DEP_1) | instskip(NEXT) | instid1(VALU_DEP_1)
	v_mad_u32 v3, 0x26f19d38, v4, v3
	v_and_b32_e32 v3, 0x7fffffff, v3
.LBB1_7:
	s_or_b32 exec_lo, exec_lo, s6
	s_delay_alu instid0(VALU_DEP_3) | instskip(NEXT) | instid1(VALU_DEP_2)
	v_mad_nc_u64_u32 v[8:9], 0xe48e2825, v2, 1
	v_cvt_f64_u32_e32 v[4:5], v3
	v_cvt_f64_u32_e32 v[6:7], v2
	s_load_b64 s[2:3], s[0:1], 0x0
	s_wait_xcnt 0x0
	s_mov_b64 s[0:1], 0x26f19d38e48e2826
	s_mov_b64 s[4:5], 0x7fefffffffffffff
	;; [unrolled: 1-line block ×3, first 2 shown]
	s_delay_alu instid0(VALU_DEP_3) | instskip(NEXT) | instid1(VALU_DEP_1)
	v_mad_u32 v3, 0xe48e2825, v3, v9
	v_mad_u32 v9, 0x26f19d38, v2, v3
	s_wait_kmcnt 0x0
	v_add_nc_u64_e32 v[0:1], s[2:3], v[0:1]
	v_ldexp_f64 v[4:5], v[4:5], 32
	s_delay_alu instid0(VALU_DEP_3) | instskip(NEXT) | instid1(VALU_DEP_1)
	v_and_b32_e32 v2, 0x7fffffff, v9
	v_cvt_f64_u32_e32 v[2:3], v2
	s_delay_alu instid0(VALU_DEP_3) | instskip(SKIP_1) | instid1(VALU_DEP_3)
	v_add_f64_e32 v[10:11], v[4:5], v[6:7]
	v_cvt_f64_u32_e32 v[6:7], v8
	v_ldexp_f64 v[2:3], v[2:3], 32
	s_delay_alu instid0(VALU_DEP_3) | instskip(NEXT) | instid1(VALU_DEP_2)
	v_ldexp_f64 v[4:5], v[10:11], 0xffffffc1
	v_add_f64_e32 v[16:17], v[2:3], v[6:7]
	v_mul_u64_e32 v[2:3], 0x26f19d38e48e2825, v[8:9]
	s_delay_alu instid0(VALU_DEP_2) | instskip(NEXT) | instid1(VALU_DEP_2)
	v_ldexp_f64 v[6:7], v[16:17], 0xffffffc1
	v_add_nc_u64_e32 v[8:9], 1, v[2:3]
	s_delay_alu instid0(VALU_DEP_1) | instskip(NEXT) | instid1(VALU_DEP_1)
	v_and_b32_e32 v9, 0x7fffffff, v9
	v_cvt_f64_u32_e32 v[12:13], v9
	s_delay_alu instid0(VALU_DEP_3) | instskip(NEXT) | instid1(VALU_DEP_2)
	v_cvt_f64_u32_e32 v[8:9], v8
	v_ldexp_f64 v[12:13], v[12:13], 32
	s_delay_alu instid0(VALU_DEP_1) | instskip(SKIP_1) | instid1(VALU_DEP_1)
	v_add_f64_e32 v[8:9], v[12:13], v[8:9]
	v_mad_nc_u64_u32 v[12:13], 0xe48e2825, v2, s[0:1]
	v_mad_u32 v3, 0xe48e2825, v3, v13
	s_delay_alu instid0(VALU_DEP_2) | instskip(NEXT) | instid1(VALU_DEP_2)
	v_cvt_f64_u32_e32 v[12:13], v12
	v_mad_u32 v2, 0x26f19d38, v2, v3
	v_ldexp_f64 v[8:9], v[8:9], 0xffffffc1
	s_delay_alu instid0(VALU_DEP_2) | instskip(NEXT) | instid1(VALU_DEP_1)
	v_and_b32_e32 v2, 0x7fffffff, v2
	v_cvt_f64_u32_e32 v[2:3], v2
	s_delay_alu instid0(VALU_DEP_1) | instskip(NEXT) | instid1(VALU_DEP_1)
	v_ldexp_f64 v[2:3], v[2:3], 32
	v_add_f64_e32 v[14:15], v[2:3], v[12:13]
	s_delay_alu instid0(VALU_DEP_1) | instskip(NEXT) | instid1(VALU_DEP_1)
	v_ldexp_f64 v[2:3], v[14:15], 0xffffffc1
	v_mul_f64_e32 v[20:21], v[4:5], v[2:3]
	s_delay_alu instid0(VALU_DEP_1) | instskip(NEXT) | instid1(VALU_DEP_1)
	v_fmac_f64_e32 v[20:21], v[6:7], v[8:9]
	v_and_b32_e32 v25, 0x7fffffff, v21
	v_mul_f64_e32 v[12:13], v[6:7], v[2:3]
	s_delay_alu instid0(VALU_DEP_1) | instskip(NEXT) | instid1(VALU_DEP_1)
	v_fma_f64 v[18:19], v[4:5], v[8:9], -v[12:13]
	v_cmp_gt_f64_e64 vcc_lo, |v[18:19]|, |v[20:21]|
	v_and_b32_e32 v24, 0x7fffffff, v19
	s_delay_alu instid0(VALU_DEP_1) | instskip(SKIP_3) | instid1(VALU_DEP_3)
	v_dual_cndmask_b32 v23, v25, v24 :: v_dual_cndmask_b32 v22, v20, v18
	v_dual_cndmask_b32 v25, v24, v25 :: v_dual_cndmask_b32 v24, v18, v20
	v_add_f64_e64 v[18:19], |v[18:19]|, |v[20:21]|
	v_fmac_f64_e32 v[12:13], v[4:5], v[8:9]
	v_div_scale_f64 v[26:27], null, v[22:23], v[22:23], v[24:25]
	s_delay_alu instid0(VALU_DEP_1) | instskip(SKIP_1) | instid1(TRANS32_DEP_1)
	v_rcp_f64_e32 v[28:29], v[26:27]
	v_nop
	v_fma_f64 v[30:31], -v[26:27], v[28:29], 1.0
	s_delay_alu instid0(VALU_DEP_1) | instskip(NEXT) | instid1(VALU_DEP_1)
	v_fmac_f64_e32 v[28:29], v[28:29], v[30:31]
	v_fma_f64 v[30:31], -v[26:27], v[28:29], 1.0
	s_delay_alu instid0(VALU_DEP_1) | instskip(SKIP_1) | instid1(VALU_DEP_1)
	v_fmac_f64_e32 v[28:29], v[28:29], v[30:31]
	v_div_scale_f64 v[30:31], vcc_lo, v[24:25], v[22:23], v[24:25]
	v_mul_f64_e32 v[32:33], v[30:31], v[28:29]
	s_delay_alu instid0(VALU_DEP_1) | instskip(NEXT) | instid1(VALU_DEP_1)
	v_fma_f64 v[26:27], -v[26:27], v[32:33], v[30:31]
	v_div_fmas_f64 v[26:27], v[26:27], v[28:29], v[32:33]
	s_delay_alu instid0(VALU_DEP_1) | instskip(NEXT) | instid1(VALU_DEP_1)
	v_div_fixup_f64 v[26:27], v[26:27], v[22:23], v[24:25]
	v_fma_f64 v[26:27], v[26:27], v[26:27], 1.0
	s_delay_alu instid0(VALU_DEP_1) | instskip(SKIP_1) | instid1(VALU_DEP_1)
	v_cmp_gt_f64_e32 vcc_lo, 0x10000000, v[26:27]
	v_cndmask_b32_e64 v28, 0, 0x100, vcc_lo
	v_ldexp_f64 v[26:27], v[26:27], v28
	s_delay_alu instid0(VALU_DEP_1) | instskip(SKIP_1) | instid1(TRANS32_DEP_1)
	v_rsq_f64_e32 v[28:29], v[26:27]
	v_nop
	v_mul_f64_e32 v[30:31], v[26:27], v[28:29]
	v_mul_f64_e32 v[28:29], 0.5, v[28:29]
	s_delay_alu instid0(VALU_DEP_1) | instskip(NEXT) | instid1(VALU_DEP_1)
	v_fma_f64 v[32:33], -v[28:29], v[30:31], 0.5
	v_fmac_f64_e32 v[30:31], v[30:31], v[32:33]
	v_fmac_f64_e32 v[28:29], v[28:29], v[32:33]
	s_delay_alu instid0(VALU_DEP_2) | instskip(NEXT) | instid1(VALU_DEP_1)
	v_fma_f64 v[34:35], -v[30:31], v[30:31], v[26:27]
	v_fmac_f64_e32 v[30:31], v[34:35], v[28:29]
	s_delay_alu instid0(VALU_DEP_1) | instskip(NEXT) | instid1(VALU_DEP_1)
	v_fma_f64 v[32:33], -v[30:31], v[30:31], v[26:27]
	v_fmac_f64_e32 v[30:31], v[32:33], v[28:29]
	v_cndmask_b32_e64 v28, 0, 0xffffff80, vcc_lo
	v_cmp_class_f64_e64 vcc_lo, v[26:27], 0x260
	s_delay_alu instid0(VALU_DEP_2) | instskip(NEXT) | instid1(VALU_DEP_1)
	v_ldexp_f64 v[28:29], v[30:31], v28
	v_dual_cndmask_b32 v27, v29, v27 :: v_dual_cndmask_b32 v26, v28, v26
	v_cmp_eq_f64_e32 vcc_lo, 0, v[22:23]
	s_delay_alu instid0(VALU_DEP_2) | instskip(SKIP_1) | instid1(VALU_DEP_1)
	v_mul_f64_e32 v[26:27], v[22:23], v[26:27]
	v_max_num_f64_e32 v[22:23], v[22:23], v[24:25]
	v_cmp_lt_f64_e64 s0, s[4:5], v[22:23]
	s_or_b32 vcc_lo, s0, vcc_lo
	v_dual_cndmask_b32 v21, v27, v19 :: v_dual_cndmask_b32 v20, v26, v18
	v_cmp_gt_f64_e32 vcc_lo, v[4:5], v[6:7]
	v_dual_cndmask_b32 v19, v7, v5 :: v_dual_cndmask_b32 v18, v6, v4
	v_dual_cndmask_b32 v22, v4, v6 :: v_dual_cndmask_b32 v23, v5, v7
	s_delay_alu instid0(VALU_DEP_1) | instskip(NEXT) | instid1(VALU_DEP_1)
	v_div_scale_f64 v[24:25], null, v[18:19], v[18:19], v[22:23]
	v_rcp_f64_e32 v[26:27], v[24:25]
	v_nop
	s_delay_alu instid0(TRANS32_DEP_1) | instskip(NEXT) | instid1(VALU_DEP_1)
	v_fma_f64 v[28:29], -v[24:25], v[26:27], 1.0
	v_fmac_f64_e32 v[26:27], v[26:27], v[28:29]
	s_delay_alu instid0(VALU_DEP_1) | instskip(NEXT) | instid1(VALU_DEP_1)
	v_fma_f64 v[28:29], -v[24:25], v[26:27], 1.0
	v_fmac_f64_e32 v[26:27], v[26:27], v[28:29]
	v_div_scale_f64 v[28:29], vcc_lo, v[22:23], v[18:19], v[22:23]
	s_delay_alu instid0(VALU_DEP_1) | instskip(NEXT) | instid1(VALU_DEP_1)
	v_mul_f64_e32 v[30:31], v[28:29], v[26:27]
	v_fma_f64 v[24:25], -v[24:25], v[30:31], v[28:29]
	s_delay_alu instid0(VALU_DEP_1) | instskip(NEXT) | instid1(VALU_DEP_1)
	v_div_fmas_f64 v[24:25], v[24:25], v[26:27], v[30:31]
	v_div_fixup_f64 v[24:25], v[24:25], v[18:19], v[22:23]
	s_delay_alu instid0(VALU_DEP_1) | instskip(NEXT) | instid1(VALU_DEP_1)
	v_fma_f64 v[24:25], v[24:25], v[24:25], 1.0
	v_cmp_gt_f64_e32 vcc_lo, 0x10000000, v[24:25]
	v_cndmask_b32_e64 v26, 0, 0x100, vcc_lo
	s_delay_alu instid0(VALU_DEP_1) | instskip(NEXT) | instid1(VALU_DEP_1)
	v_ldexp_f64 v[24:25], v[24:25], v26
	v_rsq_f64_e32 v[26:27], v[24:25]
	v_nop
	s_delay_alu instid0(TRANS32_DEP_1) | instskip(SKIP_1) | instid1(VALU_DEP_1)
	v_mul_f64_e32 v[28:29], v[24:25], v[26:27]
	v_mul_f64_e32 v[26:27], 0.5, v[26:27]
	v_fma_f64 v[30:31], -v[26:27], v[28:29], 0.5
	s_delay_alu instid0(VALU_DEP_1) | instskip(SKIP_1) | instid1(VALU_DEP_2)
	v_fmac_f64_e32 v[28:29], v[28:29], v[30:31]
	v_fmac_f64_e32 v[26:27], v[26:27], v[30:31]
	v_fma_f64 v[32:33], -v[28:29], v[28:29], v[24:25]
	s_delay_alu instid0(VALU_DEP_1) | instskip(NEXT) | instid1(VALU_DEP_1)
	v_fmac_f64_e32 v[28:29], v[32:33], v[26:27]
	v_fma_f64 v[30:31], -v[28:29], v[28:29], v[24:25]
	s_delay_alu instid0(VALU_DEP_1) | instskip(SKIP_2) | instid1(VALU_DEP_2)
	v_fmac_f64_e32 v[28:29], v[30:31], v[26:27]
	v_cndmask_b32_e64 v26, 0, 0xffffff80, vcc_lo
	v_cmp_class_f64_e64 vcc_lo, v[24:25], 0x260
	v_ldexp_f64 v[26:27], v[28:29], v26
	s_delay_alu instid0(VALU_DEP_1) | instskip(SKIP_1) | instid1(VALU_DEP_2)
	v_dual_cndmask_b32 v25, v27, v25 :: v_dual_cndmask_b32 v24, v26, v24
	v_cmp_eq_f64_e32 vcc_lo, 0, v[18:19]
	v_mul_f64_e32 v[24:25], v[18:19], v[24:25]
	v_max_num_f64_e32 v[18:19], v[18:19], v[22:23]
	s_delay_alu instid0(VALU_DEP_1) | instskip(SKIP_2) | instid1(VALU_DEP_1)
	v_cmp_lt_f64_e64 s0, s[4:5], v[18:19]
	v_fmamk_f64 v[18:19], v[16:17], 0x3c000000, v[4:5]
	s_or_b32 vcc_lo, s0, vcc_lo
	v_dual_cndmask_b32 v23, v25, v19 :: v_dual_cndmask_b32 v22, v24, v18
	v_cmp_gt_f64_e32 vcc_lo, v[8:9], v[2:3]
	v_dual_cndmask_b32 v19, v3, v9 :: v_dual_cndmask_b32 v18, v2, v8
	v_dual_cndmask_b32 v25, v9, v3 :: v_dual_cndmask_b32 v24, v8, v2
	s_delay_alu instid0(VALU_DEP_1) | instskip(NEXT) | instid1(VALU_DEP_1)
	v_div_scale_f64 v[26:27], null, v[18:19], v[18:19], v[24:25]
	v_rcp_f64_e32 v[28:29], v[26:27]
	v_nop
	s_delay_alu instid0(TRANS32_DEP_1) | instskip(NEXT) | instid1(VALU_DEP_1)
	v_fma_f64 v[30:31], -v[26:27], v[28:29], 1.0
	v_fmac_f64_e32 v[28:29], v[28:29], v[30:31]
	s_delay_alu instid0(VALU_DEP_1) | instskip(NEXT) | instid1(VALU_DEP_1)
	v_fma_f64 v[30:31], -v[26:27], v[28:29], 1.0
	v_fmac_f64_e32 v[28:29], v[28:29], v[30:31]
	v_div_scale_f64 v[30:31], vcc_lo, v[24:25], v[18:19], v[24:25]
	s_delay_alu instid0(VALU_DEP_1) | instskip(NEXT) | instid1(VALU_DEP_1)
	v_mul_f64_e32 v[32:33], v[30:31], v[28:29]
	v_fma_f64 v[26:27], -v[26:27], v[32:33], v[30:31]
	s_delay_alu instid0(VALU_DEP_1) | instskip(NEXT) | instid1(VALU_DEP_1)
	v_div_fmas_f64 v[26:27], v[26:27], v[28:29], v[32:33]
	v_div_fixup_f64 v[26:27], v[26:27], v[18:19], v[24:25]
	s_delay_alu instid0(VALU_DEP_1) | instskip(NEXT) | instid1(VALU_DEP_1)
	v_fma_f64 v[26:27], v[26:27], v[26:27], 1.0
	v_cmp_gt_f64_e32 vcc_lo, 0x10000000, v[26:27]
	v_cndmask_b32_e64 v28, 0, 0x100, vcc_lo
	s_delay_alu instid0(VALU_DEP_1) | instskip(NEXT) | instid1(VALU_DEP_1)
	v_ldexp_f64 v[26:27], v[26:27], v28
	v_rsq_f64_e32 v[28:29], v[26:27]
	v_nop
	s_delay_alu instid0(TRANS32_DEP_1) | instskip(SKIP_1) | instid1(VALU_DEP_1)
	v_mul_f64_e32 v[30:31], v[26:27], v[28:29]
	v_mul_f64_e32 v[28:29], 0.5, v[28:29]
	v_fma_f64 v[32:33], -v[28:29], v[30:31], 0.5
	s_delay_alu instid0(VALU_DEP_1) | instskip(SKIP_1) | instid1(VALU_DEP_2)
	v_fmac_f64_e32 v[30:31], v[30:31], v[32:33]
	v_fmac_f64_e32 v[28:29], v[28:29], v[32:33]
	v_fma_f64 v[34:35], -v[30:31], v[30:31], v[26:27]
	s_delay_alu instid0(VALU_DEP_1) | instskip(NEXT) | instid1(VALU_DEP_1)
	v_fmac_f64_e32 v[30:31], v[34:35], v[28:29]
	v_fma_f64 v[32:33], -v[30:31], v[30:31], v[26:27]
	s_delay_alu instid0(VALU_DEP_1) | instskip(SKIP_2) | instid1(VALU_DEP_2)
	v_fmac_f64_e32 v[30:31], v[32:33], v[28:29]
	v_cndmask_b32_e64 v28, 0, 0xffffff80, vcc_lo
	v_cmp_class_f64_e64 vcc_lo, v[26:27], 0x260
	v_ldexp_f64 v[28:29], v[30:31], v28
	s_delay_alu instid0(VALU_DEP_1) | instskip(SKIP_1) | instid1(VALU_DEP_2)
	v_dual_cndmask_b32 v27, v29, v27 :: v_dual_cndmask_b32 v26, v28, v26
	v_cmp_eq_f64_e32 vcc_lo, 0, v[18:19]
	v_mul_f64_e32 v[26:27], v[18:19], v[26:27]
	v_max_num_f64_e32 v[18:19], v[18:19], v[24:25]
	s_delay_alu instid0(VALU_DEP_1) | instskip(SKIP_3) | instid1(VALU_DEP_2)
	v_cmp_lt_f64_e64 s0, s[4:5], v[18:19]
	v_fmamk_f64 v[18:19], v[14:15], 0x3c000000, v[8:9]
	v_fma_f64 v[14:15], 0x3c000000, v[14:15], -v[6:7]
	s_or_b32 vcc_lo, s0, vcc_lo
	v_dual_cndmask_b32 v25, v27, v19 :: v_dual_cndmask_b32 v24, v26, v18
	s_delay_alu instid0(VALU_DEP_1) | instskip(SKIP_1) | instid1(VALU_DEP_1)
	v_fma_f64 v[20:21], -v[22:23], v[24:25], v[20:21]
	v_fmamk_f64 v[22:23], v[16:17], 0x3c000000, v[2:3]
	v_and_b32_e32 v27, 0x7fffffff, v23
	s_delay_alu instid0(VALU_DEP_3) | instskip(SKIP_2) | instid1(VALU_DEP_2)
	v_cmp_lt_f64_e64 s1, |v[20:21]|, s[6:7]
	v_fmamk_f64 v[20:21], v[10:11], 0x3c000000, v[8:9]
	v_fma_f64 v[10:11], 0x3c000000, v[10:11], -v[8:9]
	v_cmp_gt_f64_e64 vcc_lo, |v[20:21]|, |v[22:23]|
	v_and_b32_e32 v26, 0x7fffffff, v21
	s_delay_alu instid0(VALU_DEP_1) | instskip(SKIP_1) | instid1(VALU_DEP_1)
	v_dual_cndmask_b32 v25, v27, v26 :: v_dual_cndmask_b32 v24, v22, v20
	v_dual_cndmask_b32 v27, v26, v27 :: v_dual_cndmask_b32 v26, v20, v22
	v_div_scale_f64 v[28:29], null, v[24:25], v[24:25], v[26:27]
	s_delay_alu instid0(VALU_DEP_1) | instskip(SKIP_1) | instid1(TRANS32_DEP_1)
	v_rcp_f64_e32 v[30:31], v[28:29]
	v_nop
	v_fma_f64 v[32:33], -v[28:29], v[30:31], 1.0
	s_delay_alu instid0(VALU_DEP_1) | instskip(NEXT) | instid1(VALU_DEP_1)
	v_fmac_f64_e32 v[30:31], v[30:31], v[32:33]
	v_fma_f64 v[32:33], -v[28:29], v[30:31], 1.0
	s_delay_alu instid0(VALU_DEP_1) | instskip(SKIP_1) | instid1(VALU_DEP_1)
	v_fmac_f64_e32 v[30:31], v[30:31], v[32:33]
	v_div_scale_f64 v[32:33], vcc_lo, v[26:27], v[24:25], v[26:27]
	v_mul_f64_e32 v[34:35], v[32:33], v[30:31]
	s_delay_alu instid0(VALU_DEP_1) | instskip(NEXT) | instid1(VALU_DEP_1)
	v_fma_f64 v[28:29], -v[28:29], v[34:35], v[32:33]
	v_div_fmas_f64 v[28:29], v[28:29], v[30:31], v[34:35]
	s_delay_alu instid0(VALU_DEP_1) | instskip(NEXT) | instid1(VALU_DEP_1)
	v_div_fixup_f64 v[28:29], v[28:29], v[24:25], v[26:27]
	v_fma_f64 v[28:29], v[28:29], v[28:29], 1.0
	s_delay_alu instid0(VALU_DEP_1) | instskip(SKIP_1) | instid1(VALU_DEP_1)
	v_cmp_gt_f64_e32 vcc_lo, 0x10000000, v[28:29]
	v_cndmask_b32_e64 v30, 0, 0x100, vcc_lo
	v_ldexp_f64 v[28:29], v[28:29], v30
	s_delay_alu instid0(VALU_DEP_1) | instskip(SKIP_1) | instid1(TRANS32_DEP_1)
	v_rsq_f64_e32 v[30:31], v[28:29]
	v_nop
	v_mul_f64_e32 v[32:33], v[28:29], v[30:31]
	v_mul_f64_e32 v[30:31], 0.5, v[30:31]
	s_delay_alu instid0(VALU_DEP_1) | instskip(NEXT) | instid1(VALU_DEP_1)
	v_fma_f64 v[34:35], -v[30:31], v[32:33], 0.5
	v_fmac_f64_e32 v[32:33], v[32:33], v[34:35]
	v_fmac_f64_e32 v[30:31], v[30:31], v[34:35]
	s_delay_alu instid0(VALU_DEP_2) | instskip(NEXT) | instid1(VALU_DEP_1)
	v_fma_f64 v[36:37], -v[32:33], v[32:33], v[28:29]
	v_fmac_f64_e32 v[32:33], v[36:37], v[30:31]
	s_delay_alu instid0(VALU_DEP_1) | instskip(NEXT) | instid1(VALU_DEP_1)
	v_fma_f64 v[34:35], -v[32:33], v[32:33], v[28:29]
	v_fmac_f64_e32 v[32:33], v[34:35], v[30:31]
	v_cndmask_b32_e64 v30, 0, 0xffffff80, vcc_lo
	v_cmp_class_f64_e64 vcc_lo, v[28:29], 0x260
	s_delay_alu instid0(VALU_DEP_2) | instskip(NEXT) | instid1(VALU_DEP_1)
	v_ldexp_f64 v[30:31], v[32:33], v30
	v_dual_cndmask_b32 v29, v31, v29 :: v_dual_cndmask_b32 v28, v30, v28
	v_cmp_eq_f64_e32 vcc_lo, 0, v[24:25]
	s_delay_alu instid0(VALU_DEP_2) | instskip(SKIP_3) | instid1(VALU_DEP_3)
	v_mul_f64_e32 v[28:29], v[24:25], v[28:29]
	v_max_num_f64_e32 v[24:25], v[24:25], v[26:27]
	v_fma_f64 v[26:27], 0xbc000000, v[16:17], -v[2:3]
	v_fma_f64 v[16:17], 0x3c000000, v[16:17], -v[2:3]
	v_cmp_lt_f64_e64 s0, s[4:5], v[24:25]
	v_add_f64_e64 v[24:25], |v[20:21]|, |v[22:23]|
	v_mul_f64_e32 v[20:21], v[20:21], v[20:21]
	s_or_b32 vcc_lo, s0, vcc_lo
	s_delay_alu instid0(VALU_DEP_1) | instid1(SALU_CYCLE_1)
	v_dual_fma_f64 v[20:21], v[22:23], v[26:27], -v[20:21] :: v_dual_cndmask_b32 v25, v29, v25, vcc_lo
	s_delay_alu instid0(VALU_DEP_3) | instskip(SKIP_1) | instid1(VALU_DEP_2)
	v_cndmask_b32_e32 v24, v28, v24, vcc_lo
	v_cmp_gt_f64_e64 vcc_lo, |v[10:11]|, |v[16:17]|
	v_fmac_f64_e32 v[20:21], v[24:25], v[24:25]
	v_and_b32_e32 v24, 0x7fffffff, v11
	v_and_b32_e32 v25, 0x7fffffff, v17
	s_delay_alu instid0(VALU_DEP_1) | instskip(SKIP_1) | instid1(VALU_DEP_1)
	v_dual_cndmask_b32 v22, v16, v10 :: v_dual_cndmask_b32 v23, v25, v24
	v_dual_cndmask_b32 v25, v24, v25 :: v_dual_cndmask_b32 v24, v10, v16
	v_div_scale_f64 v[26:27], null, v[22:23], v[22:23], v[24:25]
	v_cmp_lt_f64_e64 s0, |v[20:21]|, s[6:7]
	v_cndmask_b32_e64 v20, 0, 1, s1
	s_delay_alu instid0(VALU_DEP_3) | instskip(NEXT) | instid1(VALU_DEP_2)
	v_rcp_f64_e32 v[28:29], v[26:27]
	v_cndmask_b32_e64 v21, 0, 1, s0
	s_delay_alu instid0(TRANS32_DEP_1) | instskip(NEXT) | instid1(VALU_DEP_1)
	v_fma_f64 v[30:31], -v[26:27], v[28:29], 1.0
	v_fmac_f64_e32 v[28:29], v[28:29], v[30:31]
	s_delay_alu instid0(VALU_DEP_1) | instskip(NEXT) | instid1(VALU_DEP_1)
	v_fma_f64 v[30:31], -v[26:27], v[28:29], 1.0
	v_fmac_f64_e32 v[28:29], v[28:29], v[30:31]
	v_div_scale_f64 v[30:31], vcc_lo, v[24:25], v[22:23], v[24:25]
	s_delay_alu instid0(VALU_DEP_1) | instskip(NEXT) | instid1(VALU_DEP_1)
	v_mul_f64_e32 v[32:33], v[30:31], v[28:29]
	v_fma_f64 v[26:27], -v[26:27], v[32:33], v[30:31]
	s_delay_alu instid0(VALU_DEP_1) | instskip(NEXT) | instid1(VALU_DEP_1)
	v_div_fmas_f64 v[26:27], v[26:27], v[28:29], v[32:33]
	v_div_fixup_f64 v[26:27], v[26:27], v[22:23], v[24:25]
	s_delay_alu instid0(VALU_DEP_1) | instskip(NEXT) | instid1(VALU_DEP_1)
	v_fma_f64 v[26:27], v[26:27], v[26:27], 1.0
	v_cmp_gt_f64_e32 vcc_lo, 0x10000000, v[26:27]
	v_cndmask_b32_e64 v28, 0, 0x100, vcc_lo
	s_delay_alu instid0(VALU_DEP_1) | instskip(NEXT) | instid1(VALU_DEP_1)
	v_ldexp_f64 v[26:27], v[26:27], v28
	v_rsq_f64_e32 v[28:29], v[26:27]
	v_nop
	s_delay_alu instid0(TRANS32_DEP_1) | instskip(SKIP_1) | instid1(VALU_DEP_1)
	v_mul_f64_e32 v[30:31], v[26:27], v[28:29]
	v_mul_f64_e32 v[28:29], 0.5, v[28:29]
	v_fma_f64 v[32:33], -v[28:29], v[30:31], 0.5
	s_delay_alu instid0(VALU_DEP_1) | instskip(SKIP_1) | instid1(VALU_DEP_2)
	v_fmac_f64_e32 v[30:31], v[30:31], v[32:33]
	v_fmac_f64_e32 v[28:29], v[28:29], v[32:33]
	v_fma_f64 v[34:35], -v[30:31], v[30:31], v[26:27]
	s_delay_alu instid0(VALU_DEP_1) | instskip(NEXT) | instid1(VALU_DEP_1)
	v_fmac_f64_e32 v[30:31], v[34:35], v[28:29]
	v_fma_f64 v[32:33], -v[30:31], v[30:31], v[26:27]
	s_delay_alu instid0(VALU_DEP_1) | instskip(SKIP_2) | instid1(VALU_DEP_2)
	v_fmac_f64_e32 v[30:31], v[32:33], v[28:29]
	v_cndmask_b32_e64 v28, 0, 0xffffff80, vcc_lo
	v_cmp_class_f64_e64 vcc_lo, v[26:27], 0x260
	v_ldexp_f64 v[28:29], v[30:31], v28
	s_delay_alu instid0(VALU_DEP_1) | instskip(SKIP_1) | instid1(VALU_DEP_2)
	v_dual_cndmask_b32 v27, v29, v27 :: v_dual_cndmask_b32 v26, v28, v26
	v_cmp_eq_f64_e32 vcc_lo, 0, v[22:23]
	v_mul_f64_e32 v[26:27], v[22:23], v[26:27]
	v_max_num_f64_e32 v[22:23], v[22:23], v[24:25]
	s_delay_alu instid0(VALU_DEP_1) | instskip(SKIP_3) | instid1(VALU_DEP_1)
	v_cmp_lt_f64_e64 s0, s[4:5], v[22:23]
	v_add_f64_e64 v[22:23], |v[10:11]|, |v[16:17]|
	v_mul_f64_e32 v[10:11], v[10:11], v[10:11]
	s_or_b32 vcc_lo, s0, vcc_lo
	v_fma_f64 v[10:11], v[16:17], v[14:15], -v[10:11]
	s_delay_alu instid0(VALU_DEP_3) | instskip(NEXT) | instid1(VALU_DEP_1)
	v_dual_cndmask_b32 v23, v27, v23 :: v_dual_cndmask_b32 v22, v26, v22
	v_fmac_f64_e32 v[10:11], v[22:23], v[22:23]
	s_delay_alu instid0(VALU_DEP_1) | instskip(SKIP_1) | instid1(VALU_DEP_2)
	v_cmp_lt_f64_e64 s0, |v[10:11]|, s[6:7]
	v_add_f64_e32 v[10:11], v[12:13], v[12:13]
	v_cndmask_b32_e64 v14, 0, 1, s0
	s_delay_alu instid0(VALU_DEP_2) | instskip(NEXT) | instid1(VALU_DEP_1)
	v_fmac_f64_e32 v[10:11], -2.0, v[12:13]
	v_cmp_lt_f64_e64 s0, |v[10:11]|, s[6:7]
	v_div_scale_f64 v[10:11], null, v[18:19], v[18:19], 1.0
	s_delay_alu instid0(VALU_DEP_2) | instskip(NEXT) | instid1(VALU_DEP_2)
	v_cndmask_b32_e64 v15, 0, 1, s0
	v_rcp_f64_e32 v[12:13], v[10:11]
	v_nop
	s_delay_alu instid0(TRANS32_DEP_1) | instskip(NEXT) | instid1(VALU_DEP_1)
	v_fma_f64 v[16:17], -v[10:11], v[12:13], 1.0
	v_fmac_f64_e32 v[12:13], v[12:13], v[16:17]
	s_delay_alu instid0(VALU_DEP_1) | instskip(NEXT) | instid1(VALU_DEP_1)
	v_fma_f64 v[16:17], -v[10:11], v[12:13], 1.0
	v_fmac_f64_e32 v[12:13], v[12:13], v[16:17]
	v_div_scale_f64 v[16:17], vcc_lo, 1.0, v[18:19], 1.0
	s_delay_alu instid0(VALU_DEP_1) | instskip(NEXT) | instid1(VALU_DEP_1)
	v_mul_f64_e32 v[22:23], v[16:17], v[12:13]
	v_fma_f64 v[10:11], -v[10:11], v[22:23], v[16:17]
	s_delay_alu instid0(VALU_DEP_1) | instskip(NEXT) | instid1(VALU_DEP_1)
	v_div_fmas_f64 v[10:11], v[10:11], v[12:13], v[22:23]
	v_div_fixup_f64 v[16:17], v[10:11], v[18:19], 1.0
	s_delay_alu instid0(VALU_DEP_1) | instskip(SKIP_4) | instid1(VALU_DEP_4)
	v_mul_f64_e32 v[10:11], v[4:5], v[16:17]
	v_mul_f64_e32 v[4:5], v[8:9], v[16:17]
	;; [unrolled: 1-line block ×3, first 2 shown]
	v_mul_f64_e64 v[6:7], v[16:17], -v[6:7]
	v_mul_f64_e64 v[16:17], v[16:17], -v[2:3]
	v_mul_f64_e32 v[8:9], v[4:5], v[4:5]
	s_delay_alu instid0(VALU_DEP_1) | instskip(NEXT) | instid1(VALU_DEP_3)
	v_fma_f64 v[12:13], v[18:19], v[18:19], v[8:9]
	v_fmac_f64_e32 v[8:9], v[16:17], v[16:17]
	s_delay_alu instid0(VALU_DEP_2) | instskip(NEXT) | instid1(VALU_DEP_2)
	v_div_scale_f64 v[22:23], null, v[12:13], v[12:13], 1.0
	v_div_scale_f64 v[2:3], null, v[8:9], v[8:9], 1.0
	s_delay_alu instid0(VALU_DEP_2) | instskip(SKIP_1) | instid1(TRANS32_DEP_1)
	v_rcp_f64_e32 v[24:25], v[22:23]
	v_nop
	v_fma_f64 v[26:27], -v[22:23], v[24:25], 1.0
	s_delay_alu instid0(VALU_DEP_1) | instskip(NEXT) | instid1(VALU_DEP_1)
	v_fmac_f64_e32 v[24:25], v[24:25], v[26:27]
	v_fma_f64 v[26:27], -v[22:23], v[24:25], 1.0
	s_delay_alu instid0(VALU_DEP_1) | instskip(SKIP_1) | instid1(VALU_DEP_1)
	v_fmac_f64_e32 v[24:25], v[24:25], v[26:27]
	v_div_scale_f64 v[26:27], vcc_lo, 1.0, v[12:13], 1.0
	v_mul_f64_e32 v[28:29], v[26:27], v[24:25]
	s_delay_alu instid0(VALU_DEP_1) | instskip(SKIP_1) | instid1(VALU_DEP_2)
	v_fma_f64 v[22:23], -v[22:23], v[28:29], v[26:27]
	v_mul_f64_e32 v[26:27], v[6:7], v[4:5]
	v_div_fmas_f64 v[22:23], v[22:23], v[24:25], v[28:29]
	s_delay_alu instid0(VALU_DEP_1) | instskip(SKIP_1) | instid1(VALU_DEP_4)
	v_div_fixup_f64 v[22:23], v[22:23], v[12:13], 1.0
	v_mul_f64_e32 v[12:13], v[10:11], v[4:5]
	v_fma_f64 v[4:5], -v[10:11], v[18:19], v[26:27]
	s_delay_alu instid0(VALU_DEP_2) | instskip(NEXT) | instid1(VALU_DEP_2)
	v_fma_f64 v[24:25], v[6:7], v[18:19], v[12:13]
	v_mul_f64_e32 v[4:5], v[4:5], v[22:23]
	s_delay_alu instid0(VALU_DEP_2) | instskip(NEXT) | instid1(VALU_DEP_2)
	v_mul_f64_e32 v[24:25], v[24:25], v[22:23]
	v_and_b32_e32 v23, 0x7fffffff, v5
	s_delay_alu instid0(VALU_DEP_2) | instskip(SKIP_1) | instid1(VALU_DEP_1)
	v_cmp_gt_f64_e64 vcc_lo, |v[24:25]|, |v[4:5]|
	v_and_b32_e32 v22, 0x7fffffff, v25
	v_dual_cndmask_b32 v19, v23, v22 :: v_dual_cndmask_b32 v18, v4, v24
	v_dual_cndmask_b32 v23, v22, v23 :: v_dual_cndmask_b32 v22, v24, v4
	v_add_f64_e64 v[4:5], |v[24:25]|, |v[4:5]|
	s_delay_alu instid0(VALU_DEP_2) | instskip(NEXT) | instid1(VALU_DEP_1)
	v_div_scale_f64 v[28:29], null, v[18:19], v[18:19], v[22:23]
	v_rcp_f64_e32 v[30:31], v[28:29]
	v_nop
	s_delay_alu instid0(TRANS32_DEP_1) | instskip(NEXT) | instid1(VALU_DEP_1)
	v_fma_f64 v[32:33], -v[28:29], v[30:31], 1.0
	v_fmac_f64_e32 v[30:31], v[30:31], v[32:33]
	s_delay_alu instid0(VALU_DEP_1) | instskip(NEXT) | instid1(VALU_DEP_1)
	v_fma_f64 v[32:33], -v[28:29], v[30:31], 1.0
	v_fmac_f64_e32 v[30:31], v[30:31], v[32:33]
	v_div_scale_f64 v[32:33], vcc_lo, v[22:23], v[18:19], v[22:23]
	s_delay_alu instid0(VALU_DEP_1) | instskip(NEXT) | instid1(VALU_DEP_1)
	v_mul_f64_e32 v[34:35], v[32:33], v[30:31]
	v_fma_f64 v[28:29], -v[28:29], v[34:35], v[32:33]
	s_delay_alu instid0(VALU_DEP_1) | instskip(NEXT) | instid1(VALU_DEP_1)
	v_div_fmas_f64 v[28:29], v[28:29], v[30:31], v[34:35]
	v_div_fixup_f64 v[28:29], v[28:29], v[18:19], v[22:23]
	s_delay_alu instid0(VALU_DEP_1) | instskip(NEXT) | instid1(VALU_DEP_1)
	v_fma_f64 v[28:29], v[28:29], v[28:29], 1.0
	v_cmp_gt_f64_e32 vcc_lo, 0x10000000, v[28:29]
	v_cndmask_b32_e64 v30, 0, 0x100, vcc_lo
	s_delay_alu instid0(VALU_DEP_1) | instskip(NEXT) | instid1(VALU_DEP_1)
	v_ldexp_f64 v[28:29], v[28:29], v30
	v_rsq_f64_e32 v[30:31], v[28:29]
	v_nop
	s_delay_alu instid0(TRANS32_DEP_1) | instskip(SKIP_1) | instid1(VALU_DEP_1)
	v_mul_f64_e32 v[32:33], v[28:29], v[30:31]
	v_mul_f64_e32 v[30:31], 0.5, v[30:31]
	v_fma_f64 v[34:35], -v[30:31], v[32:33], 0.5
	s_delay_alu instid0(VALU_DEP_1) | instskip(SKIP_1) | instid1(VALU_DEP_2)
	v_fmac_f64_e32 v[32:33], v[32:33], v[34:35]
	v_fmac_f64_e32 v[30:31], v[30:31], v[34:35]
	v_fma_f64 v[36:37], -v[32:33], v[32:33], v[28:29]
	s_delay_alu instid0(VALU_DEP_1) | instskip(NEXT) | instid1(VALU_DEP_1)
	v_fmac_f64_e32 v[32:33], v[36:37], v[30:31]
	v_fma_f64 v[34:35], -v[32:33], v[32:33], v[28:29]
	s_delay_alu instid0(VALU_DEP_1) | instskip(SKIP_2) | instid1(VALU_DEP_2)
	v_fmac_f64_e32 v[32:33], v[34:35], v[30:31]
	v_cndmask_b32_e64 v30, 0, 0xffffff80, vcc_lo
	v_cmp_class_f64_e64 vcc_lo, v[28:29], 0x260
	v_ldexp_f64 v[30:31], v[32:33], v30
	s_delay_alu instid0(VALU_DEP_1) | instskip(SKIP_3) | instid1(VALU_DEP_4)
	v_dual_cndmask_b32 v29, v31, v29 :: v_dual_cndmask_b32 v28, v30, v28
	v_cmp_eq_f64_e32 vcc_lo, 0, v[18:19]
	v_fmac_f64_e32 v[12:13], v[6:7], v[16:17]
	v_fma_f64 v[6:7], -v[10:11], v[16:17], v[26:27]
	v_mul_f64_e32 v[28:29], v[18:19], v[28:29]
	v_max_num_f64_e32 v[18:19], v[18:19], v[22:23]
	s_delay_alu instid0(VALU_DEP_1) | instskip(SKIP_3) | instid1(TRANS32_DEP_1)
	v_cmp_lt_f64_e64 s0, s[4:5], v[18:19]
	v_rcp_f64_e32 v[18:19], v[2:3]
	s_or_b32 vcc_lo, s0, vcc_lo
	v_dual_cndmask_b32 v5, v29, v5 :: v_dual_cndmask_b32 v4, v28, v4
	v_fma_f64 v[22:23], -v[2:3], v[18:19], 1.0
	s_delay_alu instid0(VALU_DEP_1) | instskip(NEXT) | instid1(VALU_DEP_1)
	v_fmac_f64_e32 v[18:19], v[18:19], v[22:23]
	v_fma_f64 v[22:23], -v[2:3], v[18:19], 1.0
	s_delay_alu instid0(VALU_DEP_1) | instskip(SKIP_1) | instid1(VALU_DEP_1)
	v_fmac_f64_e32 v[18:19], v[18:19], v[22:23]
	v_div_scale_f64 v[22:23], vcc_lo, 1.0, v[8:9], 1.0
	v_mul_f64_e32 v[24:25], v[22:23], v[18:19]
	s_delay_alu instid0(VALU_DEP_1) | instskip(NEXT) | instid1(VALU_DEP_1)
	v_fma_f64 v[2:3], -v[2:3], v[24:25], v[22:23]
	v_div_fmas_f64 v[2:3], v[2:3], v[18:19], v[24:25]
	s_delay_alu instid0(VALU_DEP_1) | instskip(NEXT) | instid1(VALU_DEP_1)
	v_div_fixup_f64 v[8:9], v[2:3], v[8:9], 1.0
	v_mul_f64_e32 v[2:3], v[12:13], v[8:9]
	v_mul_f64_e32 v[6:7], v[6:7], v[8:9]
	s_delay_alu instid0(VALU_DEP_2) | instskip(NEXT) | instid1(VALU_DEP_2)
	v_and_b32_e32 v10, 0x7fffffff, v3
	v_cmp_gt_f64_e64 vcc_lo, |v[2:3]|, |v[6:7]|
	v_and_b32_e32 v11, 0x7fffffff, v7
	s_delay_alu instid0(VALU_DEP_1) | instskip(SKIP_4) | instid1(VALU_DEP_2)
	v_cndmask_b32_e32 v9, v11, v10, vcc_lo
	v_cndmask_b32_e32 v8, v6, v2, vcc_lo
	;; [unrolled: 1-line block ×4, first 2 shown]
	v_add_f64_e64 v[2:3], |v[2:3]|, |v[6:7]|
	v_div_scale_f64 v[12:13], null, v[8:9], v[8:9], v[10:11]
	s_delay_alu instid0(VALU_DEP_1) | instskip(SKIP_1) | instid1(TRANS32_DEP_1)
	v_rcp_f64_e32 v[16:17], v[12:13]
	v_nop
	v_fma_f64 v[18:19], -v[12:13], v[16:17], 1.0
	s_delay_alu instid0(VALU_DEP_1) | instskip(NEXT) | instid1(VALU_DEP_1)
	v_fmac_f64_e32 v[16:17], v[16:17], v[18:19]
	v_fma_f64 v[18:19], -v[12:13], v[16:17], 1.0
	s_delay_alu instid0(VALU_DEP_1) | instskip(SKIP_1) | instid1(VALU_DEP_1)
	v_fmac_f64_e32 v[16:17], v[16:17], v[18:19]
	v_div_scale_f64 v[18:19], vcc_lo, v[10:11], v[8:9], v[10:11]
	v_mul_f64_e32 v[22:23], v[18:19], v[16:17]
	s_delay_alu instid0(VALU_DEP_1) | instskip(NEXT) | instid1(VALU_DEP_1)
	v_fma_f64 v[12:13], -v[12:13], v[22:23], v[18:19]
	v_div_fmas_f64 v[12:13], v[12:13], v[16:17], v[22:23]
	s_delay_alu instid0(VALU_DEP_1) | instskip(NEXT) | instid1(VALU_DEP_1)
	v_div_fixup_f64 v[12:13], v[12:13], v[8:9], v[10:11]
	v_fma_f64 v[12:13], v[12:13], v[12:13], 1.0
	s_delay_alu instid0(VALU_DEP_1) | instskip(SKIP_1) | instid1(VALU_DEP_1)
	v_cmp_gt_f64_e32 vcc_lo, 0x10000000, v[12:13]
	v_cndmask_b32_e64 v16, 0, 0x100, vcc_lo
	v_ldexp_f64 v[12:13], v[12:13], v16
	s_delay_alu instid0(VALU_DEP_1) | instskip(SKIP_1) | instid1(TRANS32_DEP_1)
	v_rsq_f64_e32 v[16:17], v[12:13]
	v_nop
	v_mul_f64_e32 v[18:19], v[12:13], v[16:17]
	v_mul_f64_e32 v[16:17], 0.5, v[16:17]
	s_delay_alu instid0(VALU_DEP_1) | instskip(NEXT) | instid1(VALU_DEP_1)
	v_fma_f64 v[22:23], -v[16:17], v[18:19], 0.5
	v_fmac_f64_e32 v[18:19], v[18:19], v[22:23]
	v_fmac_f64_e32 v[16:17], v[16:17], v[22:23]
	s_delay_alu instid0(VALU_DEP_2) | instskip(NEXT) | instid1(VALU_DEP_1)
	v_fma_f64 v[24:25], -v[18:19], v[18:19], v[12:13]
	v_fmac_f64_e32 v[18:19], v[24:25], v[16:17]
	s_delay_alu instid0(VALU_DEP_1) | instskip(NEXT) | instid1(VALU_DEP_1)
	v_fma_f64 v[22:23], -v[18:19], v[18:19], v[12:13]
	v_fmac_f64_e32 v[18:19], v[22:23], v[16:17]
	v_cndmask_b32_e64 v16, 0, 0xffffff80, vcc_lo
	v_cmp_class_f64_e64 vcc_lo, v[12:13], 0x260
	s_delay_alu instid0(VALU_DEP_2) | instskip(NEXT) | instid1(VALU_DEP_1)
	v_ldexp_f64 v[16:17], v[18:19], v16
	v_dual_cndmask_b32 v13, v17, v13 :: v_dual_cndmask_b32 v12, v16, v12
	v_cmp_eq_f64_e32 vcc_lo, 0, v[8:9]
	s_delay_alu instid0(VALU_DEP_2) | instskip(SKIP_1) | instid1(VALU_DEP_1)
	v_mul_f64_e32 v[12:13], v[8:9], v[12:13]
	v_max_num_f64_e32 v[8:9], v[8:9], v[10:11]
	v_cmp_lt_f64_e64 s0, s[4:5], v[8:9]
	s_or_b32 vcc_lo, s0, vcc_lo
	v_dual_cndmask_b32 v3, v13, v3 :: v_dual_cndmask_b32 v2, v12, v2
	s_delay_alu instid0(VALU_DEP_1) | instskip(NEXT) | instid1(VALU_DEP_1)
	v_add_f64_e64 v[2:3], v[4:5], -v[2:3]
	v_cmp_lt_f64_e64 s0, |v[2:3]|, s[6:7]
	v_add_nc_u16 v3, v21, v15
	s_delay_alu instid0(VALU_DEP_1) | instskip(NEXT) | instid1(VALU_DEP_1)
	v_add_nc_u16 v3, v3, v20
	v_add_nc_u16 v3, v3, v14
	s_delay_alu instid0(VALU_DEP_4) | instskip(NEXT) | instid1(VALU_DEP_1)
	v_cndmask_b32_e64 v2, 0, 1, s0
	v_add_nc_u16 v2, v3, v2
	global_store_b8 v[0:1], v2, off
.LBB1_8:
	s_endpgm
	.section	.rodata,"a",@progbits
	.p2align	6, 0x0
	.amdhsa_kernel _Z14complex_doublePci
		.amdhsa_group_segment_fixed_size 0
		.amdhsa_private_segment_fixed_size 0
		.amdhsa_kernarg_size 272
		.amdhsa_user_sgpr_count 2
		.amdhsa_user_sgpr_dispatch_ptr 0
		.amdhsa_user_sgpr_queue_ptr 0
		.amdhsa_user_sgpr_kernarg_segment_ptr 1
		.amdhsa_user_sgpr_dispatch_id 0
		.amdhsa_user_sgpr_kernarg_preload_length 0
		.amdhsa_user_sgpr_kernarg_preload_offset 0
		.amdhsa_user_sgpr_private_segment_size 0
		.amdhsa_wavefront_size32 1
		.amdhsa_uses_dynamic_stack 0
		.amdhsa_enable_private_segment 0
		.amdhsa_system_sgpr_workgroup_id_x 1
		.amdhsa_system_sgpr_workgroup_id_y 0
		.amdhsa_system_sgpr_workgroup_id_z 0
		.amdhsa_system_sgpr_workgroup_info 0
		.amdhsa_system_vgpr_workitem_id 0
		.amdhsa_next_free_vgpr 38
		.amdhsa_next_free_sgpr 10
		.amdhsa_named_barrier_count 0
		.amdhsa_reserve_vcc 1
		.amdhsa_float_round_mode_32 0
		.amdhsa_float_round_mode_16_64 0
		.amdhsa_float_denorm_mode_32 3
		.amdhsa_float_denorm_mode_16_64 3
		.amdhsa_fp16_overflow 0
		.amdhsa_memory_ordered 1
		.amdhsa_forward_progress 1
		.amdhsa_inst_pref_size 30
		.amdhsa_round_robin_scheduling 0
		.amdhsa_exception_fp_ieee_invalid_op 0
		.amdhsa_exception_fp_denorm_src 0
		.amdhsa_exception_fp_ieee_div_zero 0
		.amdhsa_exception_fp_ieee_overflow 0
		.amdhsa_exception_fp_ieee_underflow 0
		.amdhsa_exception_fp_ieee_inexact 0
		.amdhsa_exception_int_div_zero 0
	.end_amdhsa_kernel
	.text
.Lfunc_end1:
	.size	_Z14complex_doublePci, .Lfunc_end1-_Z14complex_doublePci
                                        ; -- End function
	.set _Z14complex_doublePci.num_vgpr, 38
	.set _Z14complex_doublePci.num_agpr, 0
	.set _Z14complex_doublePci.numbered_sgpr, 10
	.set _Z14complex_doublePci.num_named_barrier, 0
	.set _Z14complex_doublePci.private_seg_size, 0
	.set _Z14complex_doublePci.uses_vcc, 1
	.set _Z14complex_doublePci.uses_flat_scratch, 0
	.set _Z14complex_doublePci.has_dyn_sized_stack, 0
	.set _Z14complex_doublePci.has_recursion, 0
	.set _Z14complex_doublePci.has_indirect_call, 0
	.section	.AMDGPU.csdata,"",@progbits
; Kernel info:
; codeLenInByte = 3776
; TotalNumSgprs: 12
; NumVgprs: 38
; ScratchSize: 0
; MemoryBound: 0
; FloatMode: 240
; IeeeMode: 1
; LDSByteSize: 0 bytes/workgroup (compile time only)
; SGPRBlocks: 0
; VGPRBlocks: 2
; NumSGPRsForWavesPerEU: 12
; NumVGPRsForWavesPerEU: 38
; NamedBarCnt: 0
; Occupancy: 16
; WaveLimiterHint : 0
; COMPUTE_PGM_RSRC2:SCRATCH_EN: 0
; COMPUTE_PGM_RSRC2:USER_SGPR: 2
; COMPUTE_PGM_RSRC2:TRAP_HANDLER: 0
; COMPUTE_PGM_RSRC2:TGID_X_EN: 1
; COMPUTE_PGM_RSRC2:TGID_Y_EN: 0
; COMPUTE_PGM_RSRC2:TGID_Z_EN: 0
; COMPUTE_PGM_RSRC2:TIDIG_COMP_CNT: 0
	.text
	.protected	_Z17ref_complex_floatPci ; -- Begin function _Z17ref_complex_floatPci
	.globl	_Z17ref_complex_floatPci
	.p2align	8
	.type	_Z17ref_complex_floatPci,@function
_Z17ref_complex_floatPci:               ; @_Z17ref_complex_floatPci
; %bb.0:
	s_clause 0x1
	s_load_b32 s2, s[0:1], 0x1c
	s_load_b32 s3, s[0:1], 0x8
	s_bfe_u32 s4, ttmp6, 0x4000c
	s_and_b32 s5, ttmp6, 15
	s_add_co_i32 s4, s4, 1
	s_getreg_b32 s6, hwreg(HW_REG_IB_STS2, 6, 4)
	s_mul_i32 s4, ttmp9, s4
	s_delay_alu instid0(SALU_CYCLE_1) | instskip(SKIP_4) | instid1(SALU_CYCLE_1)
	s_add_co_i32 s5, s5, s4
	s_wait_kmcnt 0x0
	s_and_b32 s2, s2, 0xffff
	s_cmp_eq_u32 s6, 0
	s_cselect_b32 s4, ttmp9, s5
	v_mad_u32 v0, s4, s2, v0
	s_mov_b32 s2, exec_lo
	s_delay_alu instid0(VALU_DEP_1)
	v_cmpx_gt_i32_e64 s3, v0
	s_cbranch_execz .LBB2_8
; %bb.1:
	v_mov_b64_e32 v[2:3], 0x26f19d38e48e2826
	v_ashrrev_i32_e32 v1, 31, v0
	s_mov_b32 s6, exec_lo
	v_cmpx_ne_u32_e32 0, v0
	s_cbranch_execz .LBB2_7
; %bb.2:
	v_mov_b64_e32 v[2:3], 1
	v_mov_b64_e32 v[4:5], 0
	v_and_b32_e32 v7, 0x7fffffff, v1
	v_mov_b32_e32 v6, v0
	s_mov_b64 s[2:3], 0x26f19d38e48e2825
	s_mov_b32 s7, 0
	s_mov_b64 s[4:5], 1
	s_branch .LBB2_4
.LBB2_3:                                ;   in Loop: Header=BB2_4 Depth=1
	s_or_b32 exec_lo, exec_lo, s8
	v_lshrrev_b64 v[8:9], 1, v[6:7]
	v_cmp_gt_u64_e32 vcc_lo, 2, v[6:7]
	s_add_nc_u64 s[8:9], s[2:3], 1
	s_mul_u64 s[2:3], s[2:3], s[2:3]
	s_mul_u64 s[4:5], s[8:9], s[4:5]
	s_delay_alu instid0(VALU_DEP_2) | instskip(SKIP_1) | instid1(SALU_CYCLE_1)
	v_mov_b64_e32 v[6:7], v[8:9]
	s_or_b32 s7, vcc_lo, s7
	s_and_not1_b32 exec_lo, exec_lo, s7
	s_cbranch_execz .LBB2_6
.LBB2_4:                                ; =>This Inner Loop Header: Depth=1
	s_delay_alu instid0(VALU_DEP_1) | instskip(SKIP_1) | instid1(VALU_DEP_1)
	v_and_b32_e32 v8, 1, v6
	s_mov_b32 s8, exec_lo
	v_cmpx_eq_u32_e32 1, v8
	s_cbranch_execz .LBB2_3
; %bb.5:                                ;   in Loop: Header=BB2_4 Depth=1
	v_mad_nc_u64_u32 v[8:9], s2, v4, s[4:5]
	v_mul_u64_e32 v[2:3], s[2:3], v[2:3]
	s_delay_alu instid0(VALU_DEP_2) | instskip(NEXT) | instid1(VALU_DEP_1)
	v_mad_u32 v4, s3, v4, v9
	v_mad_u32 v9, s2, v5, v4
	s_delay_alu instid0(VALU_DEP_1)
	v_mov_b64_e32 v[4:5], v[8:9]
	s_branch .LBB2_3
.LBB2_6:
	s_or_b32 exec_lo, exec_lo, s7
	v_add_nc_u64_e32 v[4:5], v[4:5], v[2:3]
	s_delay_alu instid0(VALU_DEP_1) | instskip(NEXT) | instid1(VALU_DEP_1)
	v_mad_nc_u64_u32 v[2:3], 0xe48e2825, v4, 1
	v_mad_u32 v3, 0xe48e2825, v5, v3
	s_delay_alu instid0(VALU_DEP_1) | instskip(NEXT) | instid1(VALU_DEP_1)
	v_mad_u32 v3, 0x26f19d38, v4, v3
	v_and_b32_e32 v3, 0x7fffffff, v3
.LBB2_7:
	s_or_b32 exec_lo, exec_lo, s6
	s_delay_alu instid0(VALU_DEP_3) | instskip(NEXT) | instid1(VALU_DEP_2)
	v_mad_nc_u64_u32 v[4:5], 0xe48e2825, v2, 1
	v_cvt_f64_u32_e32 v[8:9], v3
	s_mov_b64 s[2:3], 0x26f19d38e48e2826
	s_load_b64 s[8:9], s[0:1], 0x0
	s_delay_alu instid0(VALU_DEP_2) | instskip(NEXT) | instid1(VALU_DEP_1)
	v_mad_u32 v5, 0xe48e2825, v3, v5
	v_mad_u32 v5, 0x26f19d38, v2, v5
	v_cvt_f64_u32_e32 v[2:3], v2
	s_wait_kmcnt 0x0
	v_add_nc_u64_e32 v[0:1], s[8:9], v[0:1]
	v_ldexp_f64 v[8:9], v[8:9], 32
	s_delay_alu instid0(VALU_DEP_4) | instskip(SKIP_1) | instid1(VALU_DEP_1)
	v_mul_u64_e32 v[6:7], 0x26f19d38e48e2825, v[4:5]
	v_and_b32_e32 v5, 0x7fffffff, v5
	v_cvt_f64_u32_e32 v[10:11], v5
	v_cvt_f64_u32_e32 v[4:5], v4
	v_add_f64_e32 v[2:3], v[8:9], v[2:3]
	v_mad_nc_u64_u32 v[12:13], 0xe48e2825, v6, s[2:3]
	v_add_nc_u64_e32 v[14:15], 1, v[6:7]
	v_ldexp_f64 v[10:11], v[10:11], 32
	s_delay_alu instid0(VALU_DEP_2) | instskip(NEXT) | instid1(VALU_DEP_4)
	v_cvt_f64_u32_e32 v[8:9], v14
	v_mad_u32 v13, 0xe48e2825, v7, v13
	s_delay_alu instid0(VALU_DEP_1) | instskip(SKIP_1) | instid1(VALU_DEP_1)
	v_mad_u32 v13, 0x26f19d38, v6, v13
	v_and_b32_e32 v6, 0x7fffffff, v15
	v_cvt_f64_u32_e32 v[6:7], v6
	v_ldexp_f64 v[2:3], v[2:3], 0xffffffc1
	s_delay_alu instid0(VALU_DEP_4) | instskip(SKIP_1) | instid1(VALU_DEP_2)
	v_and_b32_e32 v13, 0x7fffffff, v13
	v_add_f64_e32 v[4:5], v[10:11], v[4:5]
	v_cvt_f64_u32_e32 v[16:17], v13
	v_cvt_f64_u32_e32 v[10:11], v12
	v_ldexp_f64 v[6:7], v[6:7], 32
	s_delay_alu instid0(VALU_DEP_4) | instskip(NEXT) | instid1(VALU_DEP_4)
	v_ldexp_f64 v[4:5], v[4:5], 0xffffffc1
	v_ldexp_f64 v[12:13], v[16:17], 32
	v_cvt_f32_f64_e32 v17, v[2:3]
	s_delay_alu instid0(VALU_DEP_4) | instskip(NEXT) | instid1(VALU_DEP_4)
	v_add_f64_e32 v[6:7], v[6:7], v[8:9]
	v_cvt_f32_f64_e32 v16, v[4:5]
	s_delay_alu instid0(VALU_DEP_4) | instskip(NEXT) | instid1(VALU_DEP_4)
	v_add_f64_e32 v[8:9], v[12:13], v[10:11]
	v_mov_b32_e32 v20, v17
	s_delay_alu instid0(VALU_DEP_4) | instskip(NEXT) | instid1(VALU_DEP_4)
	v_ldexp_f64 v[2:3], v[6:7], 0xffffffc1
	v_pk_mul_f32 v[6:7], v[16:17], v[16:17]
	s_delay_alu instid0(VALU_DEP_4) | instskip(NEXT) | instid1(VALU_DEP_2)
	v_ldexp_f64 v[4:5], v[8:9], 0xffffffc1
	v_add_f32_e32 v6, v7, v6
	s_delay_alu instid0(VALU_DEP_1) | instskip(SKIP_2) | instid1(VALU_DEP_1)
	v_cmp_gt_f32_e32 vcc_lo, 0xf800000, v6
	v_cvt_f32_f64_e32 v19, v[2:3]
	v_mul_f32_e32 v7, 0x4f800000, v6
	v_cndmask_b32_e32 v6, v6, v7, vcc_lo
	s_delay_alu instid0(VALU_DEP_1) | instskip(SKIP_1) | instid1(TRANS32_DEP_1)
	v_sqrt_f32_e32 v7, v6
	v_cvt_f32_f64_e32 v18, v[4:5]
	v_dual_add_nc_u32 v2, -1, v7 :: v_dual_add_nc_u32 v3, 1, v7
	s_delay_alu instid0(VALU_DEP_1) | instskip(NEXT) | instid1(VALU_DEP_1)
	v_fma_f32 v4, -v2, v7, v6
	v_cmp_ge_f32_e64 s2, 0, v4
	v_mov_b32_e32 v22, v19
	s_delay_alu instid0(VALU_DEP_2) | instskip(SKIP_1) | instid1(VALU_DEP_1)
	v_cndmask_b32_e64 v2, v7, v2, s2
	v_fma_f32 v5, -v3, v7, v6
	v_cmp_lt_f32_e64 s2, 0, v5
	s_delay_alu instid0(VALU_DEP_1)
	v_cndmask_b32_e64 v2, v2, v3, s2
	v_pk_mul_f32 v[26:27], v[16:17], v[18:19] op_sel_hi:[0,1] neg_lo:[1,0] neg_hi:[1,0]
	v_pk_mul_f32 v[24:25], v[16:17], v[18:19]
	v_mov_b32_e32 v23, v18
	v_pk_add_f32 v[8:9], v[16:17], v[18:19] neg_lo:[0,1] neg_hi:[0,1]
	v_mul_f32_e32 v3, 0x37800000, v2
	v_mov_b32_e32 v25, v27
	v_pk_add_f32 v[12:13], v[18:19], v[16:17] neg_lo:[0,1] neg_hi:[0,1]
	s_delay_alu instid0(VALU_DEP_4) | instskip(NEXT) | instid1(VALU_DEP_4)
	v_pk_mul_f32 v[10:11], v[8:9], v[8:9]
	v_cndmask_b32_e32 v3, v2, v3, vcc_lo
	v_cmp_class_f32_e64 vcc_lo, v6, 0x260
	v_mul_f32_e32 v2, v19, v19
	s_delay_alu instid0(VALU_DEP_3) | instskip(NEXT) | instid1(VALU_DEP_2)
	v_cndmask_b32_e32 v21, v3, v6, vcc_lo
	v_pk_fma_f32 v[4:5], v[18:19], v[18:19], v[2:3] op_sel_hi:[1,1,0]
	v_pk_add_f32 v[2:3], v[16:17], v[18:19]
	s_delay_alu instid0(VALU_DEP_3) | instskip(NEXT) | instid1(VALU_DEP_3)
	v_pk_mul_f32 v[28:29], v[20:21], v[22:23] op_sel_hi:[0,1]
	v_cmp_gt_f32_e32 vcc_lo, 0xf800000, v4
	s_delay_alu instid0(VALU_DEP_3) | instskip(NEXT) | instid1(VALU_DEP_3)
	v_pk_mul_f32 v[14:15], v[2:3], v[2:3]
	v_pk_fma_f32 v[32:33], v[16:17], v[18:19], v[28:29] op_sel_hi:[0,1,1]
	v_pk_fma_f32 v[30:31], v[16:17], v[18:19], v[28:29] op_sel_hi:[0,1,1] neg_lo:[1,0,0] neg_hi:[1,0,0]
	s_delay_alu instid0(VALU_DEP_3) | instskip(NEXT) | instid1(VALU_DEP_3)
	v_add_f32_e32 v3, v15, v14
	v_dual_sub_f32 v7, v28, v26 :: v_dual_mov_b32 v31, v33
	v_mul_f32_e32 v5, 0x4f800000, v4
	v_sub_f32_e64 v6, -v18, v16
	v_pk_fma_f32 v[16:17], v[16:17], v[18:19], v[28:29] op_sel_hi:[0,1,1] neg_lo:[1,0,1] neg_hi:[1,0,1]
	v_pk_fma_f32 v[18:19], v[20:21], v[22:23], v[24:25] op_sel_hi:[0,1,1]
	v_cmp_gt_f32_e64 s4, 0xf800000, v3
	v_dual_cndmask_b32 v13, v4, v5, vcc_lo :: v_dual_add_f32 v5, v11, v10
	v_mul_f32_e32 v10, 0x4f800000, v3
	s_delay_alu instid0(VALU_DEP_4) | instskip(SKIP_1) | instid1(VALU_DEP_4)
	v_add_f32_e32 v7, v18, v7
	v_pk_mul_f32 v[22:23], v[30:31], v[30:31]
	v_sqrt_f32_e32 v9, v13
	v_mul_f32_e32 v14, 0x4f800000, v5
	v_cndmask_b32_e64 v3, v3, v10, s4
	v_cmp_gt_f32_e64 s5, 0xf800000, v5
	v_add_f32_e32 v22, v22, v23
	v_div_scale_f32 v16, null, v4, v4, v17
	s_delay_alu instid0(TRANS32_DEP_1)
	v_dual_add_nc_u32 v33, -1, v9 :: v_dual_add_nc_u32 v34, 1, v9
	v_fmac_f32_e32 v7, -2.0, v18
	v_cndmask_b32_e64 v10, v5, v14, s5
	v_sqrt_f32_e32 v23, v3
	v_div_scale_f32 v28, null, v4, v4, v18
	v_fma_f32 v37, -v34, v9, v13
	v_cmp_gt_f32_e64 s6, 0x3a83126f, |v7|
	v_fma_f32 v7, -v33, v9, v13
	v_div_scale_f32 v24, null, v4, v4, v30
	v_div_scale_f32 v26, null, v4, v4, v19
	s_delay_alu instid0(VALU_DEP_4) | instskip(NEXT) | instid1(VALU_DEP_4)
	v_cndmask_b32_e64 v36, 0, 1, s6
	v_cmp_ge_f32_e64 s6, 0, v7
	v_rcp_f32_e32 v5, v16
	v_rcp_f32_e32 v32, v28
	v_sqrt_f32_e32 v35, v10
	v_rcp_f32_e32 v14, v24
	v_dual_cndmask_b32 v7, v9, v33, s6 :: v_dual_add_nc_u32 v9, -1, v23
	v_cmp_lt_f32_e64 s7, 0, v37
	v_rcp_f32_e32 v31, v26
	v_fma_f32 v38, -v16, v5, 1.0
	v_fma_f32 v41, -v28, v32, 1.0
	v_dual_mul_f32 v42, 0x4f800000, v22 :: v_dual_add_nc_u32 v33, 1, v23
	v_add_nc_u32_e32 v43, -1, v35
	v_cmp_gt_f32_e64 s6, 0xf800000, v22
	v_dual_cndmask_b32 v7, v7, v34, s7 :: v_dual_fma_f32 v34, -v9, v23, v3
	v_fma_f32 v39, -v24, v14, 1.0
	v_fma_f32 v40, -v26, v31, 1.0
	v_div_scale_f32 v20, s0, v17, v4, v17
	v_div_scale_f32 v29, s3, v18, v4, v18
	v_dual_fmac_f32 v5, v38, v5 :: v_dual_add_nc_u32 v44, 1, v35
	v_dual_fmac_f32 v32, v41, v32 :: v_dual_cndmask_b32 v22, v22, v42, s6
	v_fma_f32 v38, -v43, v35, v10
	v_cmp_ge_f32_e64 s7, 0, v34
	v_div_scale_f32 v25, s1, v30, v4, v30
	v_dual_fmac_f32 v14, v39, v14 :: v_dual_fmac_f32 v31, v40, v31
	v_div_scale_f32 v27, s2, v19, v4, v19
	v_dual_fma_f32 v37, -v33, v23, v3 :: v_dual_mul_f32 v40, v20, v5
	v_dual_fma_f32 v39, -v44, v35, v10 :: v_dual_mul_f32 v45, v29, v32
	v_cndmask_b32_e64 v9, v23, v9, s7
	v_sqrt_f32_e32 v46, v22
	v_cmp_ge_f32_e64 s7, 0, v38
	v_dual_mul_f32 v41, v25, v14 :: v_dual_mul_f32 v42, v27, v31
	v_mul_f32_e32 v47, 0x37800000, v7
	s_delay_alu instid0(VALU_DEP_3) | instskip(NEXT) | instid1(VALU_DEP_3)
	v_dual_fma_f32 v34, -v16, v40, v20 :: v_dual_cndmask_b32 v23, v35, v43, s7
	v_dual_fma_f32 v35, -v24, v41, v25 :: v_dual_fma_f32 v38, -v26, v42, v27
	s_delay_alu instid0(TRANS32_DEP_1) | instskip(NEXT) | instid1(VALU_DEP_4)
	v_dual_add_nc_u32 v48, 1, v46 :: v_dual_fma_f32 v43, -v28, v45, v29
	v_cndmask_b32_e32 v47, v7, v47, vcc_lo
	v_cmp_lt_f32_e32 vcc_lo, 0, v37
	s_delay_alu instid0(VALU_DEP_4) | instskip(SKIP_3) | instid1(VALU_DEP_4)
	v_dual_fmac_f32 v40, v34, v5 :: v_dual_fmac_f32 v41, v35, v14
	v_dual_fmac_f32 v42, v38, v31 :: v_dual_add_nc_u32 v7, -1, v46
	v_dual_fmac_f32 v45, v43, v32 :: v_dual_cndmask_b32 v9, v9, v33, vcc_lo
	v_cmp_lt_f32_e32 vcc_lo, 0, v39
	v_fma_f32 v16, -v16, v40, v20
	s_delay_alu instid0(VALU_DEP_4) | instskip(NEXT) | instid1(VALU_DEP_4)
	v_dual_fma_f32 v20, -v24, v41, v25 :: v_dual_fma_f32 v24, -v26, v42, v27
	v_dual_fma_f32 v25, -v28, v45, v29 :: v_dual_cndmask_b32 v23, v23, v44, vcc_lo
	s_mov_b32 vcc_lo, s0
	s_delay_alu instid0(VALU_DEP_3)
	v_div_fmas_f32 v5, v16, v5, v40
	s_mov_b32 vcc_lo, s1
	v_cmp_class_f32_e64 s1, v10, 0x260
	v_div_fmas_f32 v14, v20, v14, v41
	s_mov_b32 vcc_lo, s2
	v_div_fixup_f32 v17, v5, v4, v17
	v_div_fmas_f32 v20, v24, v31, v42
	s_mov_b32 vcc_lo, s3
	v_div_fixup_f32 v16, v14, v4, v30
	v_div_fmas_f32 v24, v25, v32, v45
	v_dual_fma_f32 v25, -v7, v46, v22 :: v_dual_fma_f32 v14, -v48, v46, v22
	v_div_fixup_f32 v5, v20, v4, v19
	s_delay_alu instid0(VALU_DEP_4) | instskip(NEXT) | instid1(VALU_DEP_4)
	v_pk_mul_f32 v[16:17], v[16:17], v[16:17]
	v_div_fixup_f32 v4, v24, v4, v18
	s_delay_alu instid0(VALU_DEP_4) | instskip(SKIP_1) | instid1(VALU_DEP_4)
	v_cmp_ge_f32_e32 vcc_lo, 0, v25
	v_dual_mul_f32 v18, 0x37800000, v9 :: v_dual_mul_f32 v19, 0x37800000, v23
	v_add_f32_e32 v16, v16, v17
	s_delay_alu instid0(VALU_DEP_4) | instskip(SKIP_2) | instid1(VALU_DEP_3)
	v_pk_mul_f32 v[4:5], v[4:5], v[4:5]
	v_cndmask_b32_e32 v7, v46, v7, vcc_lo
	v_cmp_lt_f32_e32 vcc_lo, 0, v14
	v_dual_cndmask_b32 v9, v9, v18, s4 :: v_dual_add_f32 v4, v4, v5
	v_cndmask_b32_e64 v5, v23, v19, s5
	s_delay_alu instid0(VALU_DEP_4)
	v_cndmask_b32_e32 v14, v7, v48, vcc_lo
	v_cmp_class_f32_e64 vcc_lo, v3, 0x260
	v_mul_f32_e32 v7, 0x4f800000, v16
	v_cmp_gt_f32_e64 s0, 0xf800000, v4
	v_cndmask_b32_e32 v3, v9, v3, vcc_lo
	v_cmp_gt_f32_e32 vcc_lo, 0xf800000, v16
	v_mul_f32_e32 v17, 0x4f800000, v4
	v_cndmask_b32_e64 v9, v5, v10, s1
	v_cmp_class_f32_e64 s1, v13, 0x260
	v_cndmask_b32_e32 v16, v16, v7, vcc_lo
	s_delay_alu instid0(VALU_DEP_4) | instskip(SKIP_1) | instid1(VALU_DEP_4)
	v_cndmask_b32_e64 v17, v4, v17, s0
	v_dual_mul_f32 v4, 0x37800000, v14 :: v_dual_mov_b32 v7, v3
	v_dual_cndmask_b32 v19, v47, v13, s1 :: v_dual_mov_b32 v13, v9
	s_delay_alu instid0(VALU_DEP_4) | instskip(NEXT) | instid1(VALU_DEP_3)
	v_sqrt_f32_e32 v10, v16
	v_sqrt_f32_e32 v18, v17
	s_delay_alu instid0(VALU_DEP_2) | instskip(SKIP_2) | instid1(TRANS32_DEP_2)
	v_cndmask_b32_e64 v14, v14, v4, s6
	v_pk_mul_f32 v[2:3], v[2:3], v[6:7]
	v_pk_mul_f32 v[4:5], v[8:9], v[12:13]
	v_add_nc_u32_e32 v20, -1, v10
	s_delay_alu instid0(TRANS32_DEP_1) | instskip(SKIP_2) | instid1(VALU_DEP_4)
	v_add_nc_u32_e32 v6, -1, v18
	v_add_nc_u32_e32 v7, 1, v10
	v_dual_sub_f32 v2, v2, v15 :: v_dual_add_nc_u32 v23, 1, v18
	v_fma_f32 v24, -v20, v10, v16
	s_delay_alu instid0(VALU_DEP_4) | instskip(NEXT) | instid1(VALU_DEP_3)
	v_dual_fma_f32 v8, -v6, v18, v17 :: v_dual_sub_f32 v4, v4, v11
	v_fma_f32 v12, -v23, v18, v17
	s_delay_alu instid0(VALU_DEP_3) | instskip(NEXT) | instid1(VALU_DEP_3)
	v_cmp_ge_f32_e64 s1, 0, v24
	v_dual_fma_f32 v9, -v7, v10, v16 :: v_dual_add_f32 v4, v4, v5
	s_delay_alu instid0(VALU_DEP_2) | instskip(SKIP_1) | instid1(VALU_DEP_1)
	v_cndmask_b32_e64 v10, v10, v20, s1
	v_cmp_ge_f32_e64 s1, 0, v8
	v_cndmask_b32_e64 v6, v18, v6, s1
	s_delay_alu instid0(VALU_DEP_4) | instskip(NEXT) | instid1(VALU_DEP_1)
	v_cmp_lt_f32_e64 s1, 0, v9
	v_cndmask_b32_e64 v7, v10, v7, s1
	v_cmp_lt_f32_e64 s1, 0, v12
	s_delay_alu instid0(VALU_DEP_2) | instskip(NEXT) | instid1(VALU_DEP_2)
	v_mul_f32_e32 v9, 0x37800000, v7
	v_cndmask_b32_e64 v6, v6, v23, s1
	v_cmp_class_f32_e64 s1, v22, 0x260
	s_delay_alu instid0(VALU_DEP_2) | instskip(SKIP_1) | instid1(VALU_DEP_3)
	v_dual_cndmask_b32 v5, v7, v9 :: v_dual_mul_f32 v10, 0x37800000, v6
	v_cmp_class_f32_e64 vcc_lo, v16, 0x260
	v_cndmask_b32_e64 v8, v14, v22, s1
	s_delay_alu instid0(VALU_DEP_2) | instskip(SKIP_1) | instid1(VALU_DEP_2)
	v_dual_cndmask_b32 v6, v6, v10, s0 :: v_dual_cndmask_b32 v5, v5, v16, vcc_lo
	v_cmp_class_f32_e64 vcc_lo, v17, 0x260
	v_cndmask_b32_e32 v6, v6, v17, vcc_lo
	v_add_f32_e32 v2, v2, v3
	v_fma_f32 v3, -v21, v19, v8
	s_delay_alu instid0(VALU_DEP_3) | instskip(NEXT) | instid1(VALU_DEP_3)
	v_sub_f32_e32 v5, v5, v6
	v_cmp_gt_f32_e64 s0, 0x3a83126f, |v2|
	s_delay_alu instid0(VALU_DEP_1) | instskip(NEXT) | instid1(VALU_DEP_4)
	v_cndmask_b32_e64 v2, 0, 1, s0
	v_cmp_gt_f32_e64 s0, 0x3a83126f, |v3|
	s_delay_alu instid0(VALU_DEP_2) | instskip(NEXT) | instid1(VALU_DEP_2)
	v_add_nc_u16 v2, v2, v36
	v_cndmask_b32_e64 v3, 0, 1, s0
	v_cmp_gt_f32_e64 s0, 0x3a83126f, |v4|
	s_delay_alu instid0(VALU_DEP_2) | instskip(NEXT) | instid1(VALU_DEP_2)
	v_add_nc_u16 v2, v2, v3
	;; [unrolled: 4-line block ×3, first 2 shown]
	v_cndmask_b32_e64 v3, 0, 1, s0
	s_delay_alu instid0(VALU_DEP_1)
	v_add_nc_u16 v2, v2, v3
	global_store_b8 v[0:1], v2, off
.LBB2_8:
	s_endpgm
	.section	.rodata,"a",@progbits
	.p2align	6, 0x0
	.amdhsa_kernel _Z17ref_complex_floatPci
		.amdhsa_group_segment_fixed_size 0
		.amdhsa_private_segment_fixed_size 0
		.amdhsa_kernarg_size 272
		.amdhsa_user_sgpr_count 2
		.amdhsa_user_sgpr_dispatch_ptr 0
		.amdhsa_user_sgpr_queue_ptr 0
		.amdhsa_user_sgpr_kernarg_segment_ptr 1
		.amdhsa_user_sgpr_dispatch_id 0
		.amdhsa_user_sgpr_kernarg_preload_length 0
		.amdhsa_user_sgpr_kernarg_preload_offset 0
		.amdhsa_user_sgpr_private_segment_size 0
		.amdhsa_wavefront_size32 1
		.amdhsa_uses_dynamic_stack 0
		.amdhsa_enable_private_segment 0
		.amdhsa_system_sgpr_workgroup_id_x 1
		.amdhsa_system_sgpr_workgroup_id_y 0
		.amdhsa_system_sgpr_workgroup_id_z 0
		.amdhsa_system_sgpr_workgroup_info 0
		.amdhsa_system_vgpr_workitem_id 0
		.amdhsa_next_free_vgpr 49
		.amdhsa_next_free_sgpr 10
		.amdhsa_named_barrier_count 0
		.amdhsa_reserve_vcc 1
		.amdhsa_float_round_mode_32 0
		.amdhsa_float_round_mode_16_64 0
		.amdhsa_float_denorm_mode_32 3
		.amdhsa_float_denorm_mode_16_64 3
		.amdhsa_fp16_overflow 0
		.amdhsa_memory_ordered 1
		.amdhsa_forward_progress 1
		.amdhsa_inst_pref_size 19
		.amdhsa_round_robin_scheduling 0
		.amdhsa_exception_fp_ieee_invalid_op 0
		.amdhsa_exception_fp_denorm_src 0
		.amdhsa_exception_fp_ieee_div_zero 0
		.amdhsa_exception_fp_ieee_overflow 0
		.amdhsa_exception_fp_ieee_underflow 0
		.amdhsa_exception_fp_ieee_inexact 0
		.amdhsa_exception_int_div_zero 0
	.end_amdhsa_kernel
	.text
.Lfunc_end2:
	.size	_Z17ref_complex_floatPci, .Lfunc_end2-_Z17ref_complex_floatPci
                                        ; -- End function
	.set _Z17ref_complex_floatPci.num_vgpr, 49
	.set _Z17ref_complex_floatPci.num_agpr, 0
	.set _Z17ref_complex_floatPci.numbered_sgpr, 10
	.set _Z17ref_complex_floatPci.num_named_barrier, 0
	.set _Z17ref_complex_floatPci.private_seg_size, 0
	.set _Z17ref_complex_floatPci.uses_vcc, 1
	.set _Z17ref_complex_floatPci.uses_flat_scratch, 0
	.set _Z17ref_complex_floatPci.has_dyn_sized_stack, 0
	.set _Z17ref_complex_floatPci.has_recursion, 0
	.set _Z17ref_complex_floatPci.has_indirect_call, 0
	.section	.AMDGPU.csdata,"",@progbits
; Kernel info:
; codeLenInByte = 2320
; TotalNumSgprs: 12
; NumVgprs: 49
; ScratchSize: 0
; MemoryBound: 0
; FloatMode: 240
; IeeeMode: 1
; LDSByteSize: 0 bytes/workgroup (compile time only)
; SGPRBlocks: 0
; VGPRBlocks: 3
; NumSGPRsForWavesPerEU: 12
; NumVGPRsForWavesPerEU: 49
; NamedBarCnt: 0
; Occupancy: 16
; WaveLimiterHint : 0
; COMPUTE_PGM_RSRC2:SCRATCH_EN: 0
; COMPUTE_PGM_RSRC2:USER_SGPR: 2
; COMPUTE_PGM_RSRC2:TRAP_HANDLER: 0
; COMPUTE_PGM_RSRC2:TGID_X_EN: 1
; COMPUTE_PGM_RSRC2:TGID_Y_EN: 0
; COMPUTE_PGM_RSRC2:TGID_Z_EN: 0
; COMPUTE_PGM_RSRC2:TIDIG_COMP_CNT: 0
	.text
	.protected	_Z18ref_complex_doublePci ; -- Begin function _Z18ref_complex_doublePci
	.globl	_Z18ref_complex_doublePci
	.p2align	8
	.type	_Z18ref_complex_doublePci,@function
_Z18ref_complex_doublePci:              ; @_Z18ref_complex_doublePci
; %bb.0:
	s_clause 0x1
	s_load_b32 s2, s[0:1], 0x1c
	s_load_b32 s3, s[0:1], 0x8
	s_bfe_u32 s4, ttmp6, 0x4000c
	s_and_b32 s5, ttmp6, 15
	s_add_co_i32 s4, s4, 1
	s_getreg_b32 s6, hwreg(HW_REG_IB_STS2, 6, 4)
	s_mul_i32 s4, ttmp9, s4
	s_delay_alu instid0(SALU_CYCLE_1) | instskip(SKIP_4) | instid1(SALU_CYCLE_1)
	s_add_co_i32 s5, s5, s4
	s_wait_kmcnt 0x0
	s_and_b32 s2, s2, 0xffff
	s_cmp_eq_u32 s6, 0
	s_cselect_b32 s4, ttmp9, s5
	v_mad_u32 v0, s4, s2, v0
	s_mov_b32 s2, exec_lo
	s_delay_alu instid0(VALU_DEP_1)
	v_cmpx_gt_i32_e64 s3, v0
	s_cbranch_execz .LBB3_8
; %bb.1:
	v_mov_b64_e32 v[2:3], 0x26f19d38e48e2826
	v_ashrrev_i32_e32 v1, 31, v0
	s_mov_b32 s6, exec_lo
	v_cmpx_ne_u32_e32 0, v0
	s_cbranch_execz .LBB3_7
; %bb.2:
	v_mov_b64_e32 v[2:3], 1
	v_mov_b64_e32 v[4:5], 0
	v_and_b32_e32 v7, 0x7fffffff, v1
	v_mov_b32_e32 v6, v0
	s_mov_b64 s[2:3], 0x26f19d38e48e2825
	s_mov_b32 s7, 0
	s_mov_b64 s[4:5], 1
	s_branch .LBB3_4
.LBB3_3:                                ;   in Loop: Header=BB3_4 Depth=1
	s_or_b32 exec_lo, exec_lo, s8
	v_lshrrev_b64 v[8:9], 1, v[6:7]
	v_cmp_gt_u64_e32 vcc_lo, 2, v[6:7]
	s_add_nc_u64 s[8:9], s[2:3], 1
	s_mul_u64 s[2:3], s[2:3], s[2:3]
	s_mul_u64 s[4:5], s[8:9], s[4:5]
	s_delay_alu instid0(VALU_DEP_2) | instskip(SKIP_1) | instid1(SALU_CYCLE_1)
	v_mov_b64_e32 v[6:7], v[8:9]
	s_or_b32 s7, vcc_lo, s7
	s_and_not1_b32 exec_lo, exec_lo, s7
	s_cbranch_execz .LBB3_6
.LBB3_4:                                ; =>This Inner Loop Header: Depth=1
	s_delay_alu instid0(VALU_DEP_1) | instskip(SKIP_1) | instid1(VALU_DEP_1)
	v_and_b32_e32 v8, 1, v6
	s_mov_b32 s8, exec_lo
	v_cmpx_eq_u32_e32 1, v8
	s_cbranch_execz .LBB3_3
; %bb.5:                                ;   in Loop: Header=BB3_4 Depth=1
	v_mad_nc_u64_u32 v[8:9], s2, v4, s[4:5]
	v_mul_u64_e32 v[2:3], s[2:3], v[2:3]
	s_delay_alu instid0(VALU_DEP_2) | instskip(NEXT) | instid1(VALU_DEP_1)
	v_mad_u32 v4, s3, v4, v9
	v_mad_u32 v9, s2, v5, v4
	s_delay_alu instid0(VALU_DEP_1)
	v_mov_b64_e32 v[4:5], v[8:9]
	s_branch .LBB3_3
.LBB3_6:
	s_or_b32 exec_lo, exec_lo, s7
	v_add_nc_u64_e32 v[4:5], v[4:5], v[2:3]
	s_delay_alu instid0(VALU_DEP_1) | instskip(NEXT) | instid1(VALU_DEP_1)
	v_mad_nc_u64_u32 v[2:3], 0xe48e2825, v4, 1
	v_mad_u32 v3, 0xe48e2825, v5, v3
	s_delay_alu instid0(VALU_DEP_1) | instskip(NEXT) | instid1(VALU_DEP_1)
	v_mad_u32 v3, 0x26f19d38, v4, v3
	v_and_b32_e32 v3, 0x7fffffff, v3
.LBB3_7:
	s_or_b32 exec_lo, exec_lo, s6
	s_delay_alu instid0(VALU_DEP_3) | instskip(SKIP_1) | instid1(VALU_DEP_2)
	v_mad_nc_u64_u32 v[4:5], 0xe48e2825, v2, 1
	s_mov_b64 s[2:3], 0x26f19d38e48e2826
	v_cvt_f64_u32_e32 v[10:11], v3
	s_load_b64 s[0:1], s[0:1], 0x0
	s_delay_alu instid0(VALU_DEP_2) | instskip(NEXT) | instid1(VALU_DEP_3)
	v_mad_u32 v5, 0xe48e2825, v3, v5
	v_cvt_f64_u32_e32 v[22:23], v4
	s_delay_alu instid0(VALU_DEP_2) | instskip(SKIP_2) | instid1(VALU_DEP_2)
	v_mad_u32 v5, 0x26f19d38, v2, v5
	s_wait_kmcnt 0x0
	v_add_nc_u64_e32 v[0:1], s[0:1], v[0:1]
	v_mul_u64_e32 v[6:7], 0x26f19d38e48e2825, v[4:5]
	v_and_b32_e32 v5, 0x7fffffff, v5
	v_ldexp_f64 v[10:11], v[10:11], 32
	s_delay_alu instid0(VALU_DEP_2) | instskip(NEXT) | instid1(VALU_DEP_4)
	v_cvt_f64_u32_e32 v[16:17], v5
	v_mad_nc_u64_u32 v[8:9], 0xe48e2825, v6, s[2:3]
	s_delay_alu instid0(VALU_DEP_1) | instskip(NEXT) | instid1(VALU_DEP_1)
	v_mad_u32 v9, 0xe48e2825, v7, v9
	v_mad_u32 v9, 0x26f19d38, v6, v9
	v_add_nc_u64_e32 v[6:7], 1, v[6:7]
	s_delay_alu instid0(VALU_DEP_1) | instskip(NEXT) | instid1(VALU_DEP_3)
	v_and_b32_e32 v3, 0x7fffffff, v7
	v_and_b32_e32 v7, 0x7fffffff, v9
	v_cvt_f64_u32_e32 v[8:9], v8
	s_delay_alu instid0(VALU_DEP_3) | instskip(SKIP_1) | instid1(VALU_DEP_4)
	v_cvt_f64_u32_e32 v[12:13], v3
	v_cvt_f64_u32_e32 v[2:3], v2
	;; [unrolled: 1-line block ×4, first 2 shown]
	s_delay_alu instid0(VALU_DEP_4) | instskip(NEXT) | instid1(VALU_DEP_3)
	v_ldexp_f64 v[12:13], v[12:13], 32
	v_ldexp_f64 v[18:19], v[14:15], 32
	v_add_f64_e32 v[14:15], v[10:11], v[2:3]
	v_ldexp_f64 v[2:3], v[16:17], 32
	s_delay_alu instid0(VALU_DEP_4) | instskip(NEXT) | instid1(VALU_DEP_4)
	v_add_f64_e32 v[10:11], v[12:13], v[6:7]
	v_add_f64_e32 v[4:5], v[18:19], v[8:9]
	s_delay_alu instid0(VALU_DEP_4) | instskip(NEXT) | instid1(VALU_DEP_4)
	v_ldexp_f64 v[20:21], v[14:15], 0xffffffc1
	v_add_f64_e32 v[6:7], v[2:3], v[22:23]
	s_delay_alu instid0(VALU_DEP_4) | instskip(NEXT) | instid1(VALU_DEP_4)
	v_ldexp_f64 v[12:13], v[10:11], 0xffffffc1
	v_ldexp_f64 v[10:11], v[4:5], 0xffffffc1
	s_delay_alu instid0(VALU_DEP_3) | instskip(NEXT) | instid1(VALU_DEP_3)
	v_ldexp_f64 v[8:9], v[6:7], 0xffffffc1
	v_mul_f64_e32 v[2:3], v[20:21], v[12:13]
	s_delay_alu instid0(VALU_DEP_3) | instskip(SKIP_1) | instid1(VALU_DEP_4)
	v_mul_f64_e32 v[16:17], v[10:11], v[10:11]
	v_mul_f64_e32 v[22:23], v[20:21], v[10:11]
	;; [unrolled: 1-line block ×3, first 2 shown]
	v_fma_f64 v[4:5], 0x3c000000, v[4:5], -v[8:9]
	v_fma_f64 v[18:19], -v[8:9], v[10:11], v[2:3]
	v_fmac_f64_e32 v[2:3], v[8:9], v[10:11]
	v_fmac_f64_e32 v[16:17], v[12:13], v[12:13]
	v_fma_f64 v[28:29], v[12:13], -v[8:9], -v[22:23]
	v_fma_f64 v[36:37], -v[8:9], v[12:13], v[22:23]
	v_fmac_f64_e32 v[50:51], v[20:21], v[20:21]
	v_fmamk_f64 v[20:21], v[14:15], 0x3c000000, v[12:13]
	v_fma_f64 v[22:23], v[8:9], v[12:13], v[22:23]
	v_add_f64_e32 v[8:9], v[2:3], v[2:3]
	v_div_scale_f64 v[24:25], null, v[16:17], v[16:17], v[18:19]
	v_div_scale_f64 v[32:33], null, v[16:17], v[16:17], v[28:29]
	;; [unrolled: 1-line block ×4, first 2 shown]
	v_cmp_gt_f64_e64 s3, 0x10000000, v[50:51]
	v_div_scale_f64 v[52:53], vcc_lo, v[18:19], v[16:17], v[18:19]
	v_div_scale_f64 v[60:61], s4, v[2:3], v[16:17], v[2:3]
	v_mul_f64_e32 v[22:23], v[22:23], v[22:23]
	v_fmac_f64_e32 v[8:9], -2.0, v[2:3]
	v_rcp_f64_e32 v[34:35], v[24:25]
	v_rcp_f64_e32 v[40:41], v[32:33]
	v_rcp_f64_e32 v[44:45], v[38:39]
	v_rcp_f64_e32 v[46:47], v[42:43]
	s_delay_alu instid0(VALU_DEP_2) | instskip(SKIP_1) | instid1(TRANS32_DEP_3)
	v_fmac_f64_e32 v[22:23], v[18:19], v[18:19]
	v_fma_f64 v[26:27], -v[24:25], v[34:35], 1.0
	v_fma_f64 v[30:31], -v[32:33], v[40:41], 1.0
	s_delay_alu instid0(TRANS32_DEP_1) | instskip(NEXT) | instid1(VALU_DEP_3)
	v_fma_f64 v[48:49], -v[42:43], v[46:47], 1.0
	v_fmac_f64_e32 v[34:35], v[34:35], v[26:27]
	s_delay_alu instid0(TRANS32_DEP_2) | instskip(NEXT) | instid1(VALU_DEP_4)
	v_fma_f64 v[26:27], -v[38:39], v[44:45], 1.0
	v_fmac_f64_e32 v[40:41], v[40:41], v[30:31]
	s_delay_alu instid0(VALU_DEP_4)
	v_fmac_f64_e32 v[46:47], v[46:47], v[48:49]
	v_div_scale_f64 v[48:49], s2, v[28:29], v[16:17], v[28:29]
	v_fma_f64 v[30:31], -v[24:25], v[34:35], 1.0
	v_fmac_f64_e32 v[44:45], v[44:45], v[26:27]
	v_fma_f64 v[26:27], -v[32:33], v[40:41], 1.0
	v_fma_f64 v[58:59], -v[42:43], v[46:47], 1.0
	s_delay_alu instid0(VALU_DEP_4) | instskip(NEXT) | instid1(VALU_DEP_4)
	v_fmac_f64_e32 v[34:35], v[34:35], v[30:31]
	v_fma_f64 v[54:55], -v[38:39], v[44:45], 1.0
	s_delay_alu instid0(VALU_DEP_4)
	v_fmac_f64_e32 v[40:41], v[40:41], v[26:27]
	v_mul_f64_e32 v[26:27], v[20:21], v[20:21]
	v_fmamk_f64 v[30:31], v[6:7], 0x3c000000, v[10:11]
	v_cndmask_b32_e64 v20, 0, 0x100, s3
	v_fmac_f64_e32 v[46:47], v[46:47], v[58:59]
	v_div_scale_f64 v[58:59], s5, v[36:37], v[16:17], v[36:37]
	s_delay_alu instid0(VALU_DEP_3) | instskip(SKIP_4) | instid1(VALU_DEP_4)
	v_ldexp_f64 v[20:21], v[50:51], v20
	v_mul_f64_e32 v[56:57], v[52:53], v[34:35]
	v_fmac_f64_e32 v[44:45], v[44:45], v[54:55]
	v_mul_f64_e32 v[50:51], v[48:49], v[40:41]
	v_fma_f64 v[54:55], v[30:31], v[30:31], v[26:27]
	v_fma_f64 v[52:53], -v[24:25], v[56:57], v[52:53]
	s_delay_alu instid0(VALU_DEP_3) | instskip(NEXT) | instid1(VALU_DEP_3)
	v_fma_f64 v[32:33], -v[32:33], v[50:51], v[48:49]
	v_cmp_gt_f64_e64 s6, 0x10000000, v[54:55]
	v_rsq_f64_e32 v[48:49], v[20:21]
	s_delay_alu instid0(VALU_DEP_3)
	v_div_fmas_f64 v[34:35], v[52:53], v[34:35], v[56:57]
	s_mov_b32 vcc_lo, s2
	v_cmp_gt_f64_e64 s2, 0x10000000, v[16:17]
	v_cndmask_b32_e64 v24, 0, 0x100, s6
	v_mul_f64_e32 v[52:53], v[60:61], v[44:45]
	v_mul_f64_e32 v[56:57], v[58:59], v[46:47]
	v_div_fmas_f64 v[32:33], v[32:33], v[40:41], v[50:51]
	s_mov_b32 vcc_lo, s4
	v_ldexp_f64 v[24:25], v[54:55], v24
	v_fma_f64 v[54:55], 0x3c000000, v[14:15], -v[12:13]
	v_fma_f64 v[14:15], 0x3c000000, v[6:7], -v[10:11]
	;; [unrolled: 1-line block ×3, first 2 shown]
	v_cmp_gt_f64_e64 s4, 0x10000000, v[22:23]
	v_cndmask_b32_e64 v10, 0, 0xffffff80, s6
	v_div_fixup_f64 v[18:19], v[34:35], v[16:17], v[18:19]
	v_cndmask_b32_e64 v50, 0, 0x100, s2
	v_fma_f64 v[38:39], -v[38:39], v[52:53], v[60:61]
	v_fma_f64 v[42:43], -v[42:43], v[56:57], v[58:59]
	v_div_fixup_f64 v[28:29], v[32:33], v[16:17], v[28:29]
	s_delay_alu instid0(VALU_DEP_4) | instskip(SKIP_2) | instid1(TRANS32_DEP_2)
	v_ldexp_f64 v[12:13], v[16:17], v50
	v_rsq_f64_e32 v[50:51], v[24:25]
	v_mul_f64_e32 v[40:41], v[54:55], v[54:55]
	v_mul_f64_e32 v[54:55], v[20:21], v[48:49]
	v_mul_f64_e32 v[48:49], 0.5, v[48:49]
	v_fma_f64 v[6:7], v[30:31], v[6:7], -v[26:27]
	v_cndmask_b32_e64 v26, 0, 0xffffff80, s2
	v_cndmask_b32_e64 v31, 0, 0xffffff80, s4
	v_div_fmas_f64 v[38:39], v[38:39], v[44:45], v[52:53]
	s_mov_b32 vcc_lo, s5
	v_mul_f64_e32 v[28:29], v[28:29], v[28:29]
	v_rsq_f64_e32 v[44:45], v[12:13]
	v_div_fmas_f64 v[42:43], v[42:43], v[46:47], v[56:57]
	v_fma_f64 v[58:59], v[14:15], v[14:15], v[40:41]
	v_cmp_class_f64_e64 s2, v[12:13], 0x260
	v_fma_f64 v[52:53], -v[48:49], v[54:55], 0.5
	v_fma_f64 v[4:5], v[14:15], v[4:5], -v[40:41]
	s_delay_alu instid0(TRANS32_DEP_2)
	v_mul_f64_e32 v[46:47], v[24:25], v[50:51]
	v_mul_f64_e32 v[50:51], 0.5, v[50:51]
	v_fmac_f64_e32 v[28:29], v[18:19], v[18:19]
	v_div_fixup_f64 v[36:37], v[42:43], v[16:17], v[36:37]
	v_cmp_gt_f64_e32 vcc_lo, 0x10000000, v[58:59]
	v_cndmask_b32_e64 v42, 0, 0x100, s4
	v_fmac_f64_e32 v[54:55], v[54:55], v[52:53]
	v_fmac_f64_e32 v[48:49], v[48:49], v[52:53]
	s_delay_alu instid0(TRANS32_DEP_1)
	v_mul_f64_e32 v[32:33], v[12:13], v[44:45]
	v_mul_f64_e32 v[44:45], 0.5, v[44:45]
	v_ldexp_f64 v[22:23], v[22:23], v42
	v_div_fixup_f64 v[16:17], v[38:39], v[16:17], v[2:3]
	v_cmp_gt_f64_e64 s5, 0x10000000, v[28:29]
	v_mul_f64_e32 v[36:37], v[36:37], v[36:37]
	v_cndmask_b32_e64 v56, 0, 0x100, vcc_lo
	v_cndmask_b32_e64 v30, 0, 0xffffff80, vcc_lo
	v_fma_f64 v[42:43], -v[54:55], v[54:55], v[20:21]
	v_cmp_class_f64_e64 vcc_lo, v[20:21], 0x260
	s_delay_alu instid0(VALU_DEP_4)
	v_ldexp_f64 v[56:57], v[58:59], v56
	v_fma_f64 v[58:59], -v[50:51], v[46:47], 0.5
	v_fma_f64 v[52:53], -v[44:45], v[32:33], 0.5
	v_rsq_f64_e32 v[38:39], v[22:23]
	v_cmp_class_f64_e64 s6, v[22:23], 0x260
	v_fmac_f64_e32 v[36:37], v[16:17], v[16:17]
	v_fmac_f64_e32 v[54:55], v[42:43], v[48:49]
	v_rsq_f64_e32 v[34:35], v[56:57]
	v_fmac_f64_e32 v[46:47], v[46:47], v[58:59]
	v_fmac_f64_e32 v[50:51], v[50:51], v[58:59]
	;; [unrolled: 1-line block ×4, first 2 shown]
	v_cndmask_b32_e64 v58, 0, 0x100, s5
	v_cmp_class_f64_e64 s4, v[56:57], 0x260
	s_delay_alu instid0(VALU_DEP_2) | instskip(SKIP_4) | instid1(VALU_DEP_4)
	v_ldexp_f64 v[28:29], v[28:29], v58
	v_cmp_gt_f64_e64 s7, 0x10000000, v[36:37]
	v_fma_f64 v[18:19], -v[54:55], v[54:55], v[20:21]
	v_fma_f64 v[42:43], -v[46:47], v[46:47], v[24:25]
	;; [unrolled: 1-line block ×3, first 2 shown]
	v_cndmask_b32_e64 v59, 0, 0x100, s7
	s_delay_alu instid0(VALU_DEP_4) | instskip(NEXT) | instid1(VALU_DEP_2)
	v_fmac_f64_e32 v[54:55], v[18:19], v[48:49]
	v_ldexp_f64 v[36:37], v[36:37], v59
	v_rsq_f64_e32 v[58:59], v[28:29]
	v_fmac_f64_e32 v[46:47], v[42:43], v[50:51]
	s_delay_alu instid0(TRANS32_DEP_3) | instskip(SKIP_2) | instid1(VALU_DEP_4)
	v_mul_f64_e32 v[42:43], v[22:23], v[38:39]
	v_fmac_f64_e32 v[32:33], v[52:53], v[44:45]
	v_mul_f64_e32 v[38:39], 0.5, v[38:39]
	v_fma_f64 v[48:49], -v[46:47], v[46:47], v[24:25]
	s_delay_alu instid0(VALU_DEP_2) | instskip(NEXT) | instid1(VALU_DEP_2)
	v_fma_f64 v[52:53], -v[38:39], v[42:43], 0.5
	v_fmac_f64_e32 v[46:47], v[48:49], v[50:51]
	v_fma_f64 v[50:51], -v[32:33], v[32:33], v[12:13]
	v_rsq_f64_e32 v[48:49], v[36:37]
	s_delay_alu instid0(VALU_DEP_3) | instskip(SKIP_1) | instid1(TRANS32_DEP_2)
	v_fmac_f64_e32 v[42:43], v[42:43], v[52:53]
	v_fmac_f64_e32 v[38:39], v[38:39], v[52:53]
	v_mul_f64_e32 v[52:53], v[28:29], v[58:59]
	v_mul_f64_e32 v[58:59], 0.5, v[58:59]
	v_ldexp_f64 v[10:11], v[46:47], v10
	v_fmac_f64_e32 v[32:33], v[50:51], v[44:45]
	v_fma_f64 v[44:45], -v[42:43], v[42:43], v[22:23]
	s_delay_alu instid0(TRANS32_DEP_1) | instskip(SKIP_1) | instid1(VALU_DEP_4)
	v_mul_f64_e32 v[50:51], v[36:37], v[48:49]
	v_mul_f64_e32 v[48:49], 0.5, v[48:49]
	v_ldexp_f64 v[26:27], v[32:33], v26
	v_cndmask_b32_e64 v32, 0, 0xffffff80, s5
	v_cmp_class_f64_e64 s5, v[28:29], 0x260
	s_delay_alu instid0(TRANS32_DEP_3)
	v_mul_f64_e32 v[16:17], v[56:57], v[34:35]
	v_mul_f64_e32 v[34:35], 0.5, v[34:35]
	v_fmac_f64_e32 v[42:43], v[44:45], v[38:39]
	v_cndmask_b32_e64 v33, 0, 0xffffff80, s7
	v_cmp_class_f64_e64 s7, v[36:37], 0x260
	v_fma_f64 v[44:45], -v[48:49], v[50:51], 0.5
	v_fma_f64 v[18:19], -v[34:35], v[16:17], 0.5
	s_delay_alu instid0(VALU_DEP_2) | instskip(SKIP_1) | instid1(VALU_DEP_3)
	v_fmac_f64_e32 v[50:51], v[50:51], v[44:45]
	v_fmac_f64_e32 v[48:49], v[48:49], v[44:45]
	;; [unrolled: 1-line block ×4, first 2 shown]
	s_delay_alu instid0(VALU_DEP_4) | instskip(NEXT) | instid1(VALU_DEP_3)
	v_fma_f64 v[44:45], -v[50:51], v[50:51], v[36:37]
	v_fma_f64 v[18:19], -v[16:17], v[16:17], v[56:57]
	s_delay_alu instid0(VALU_DEP_2) | instskip(SKIP_1) | instid1(VALU_DEP_3)
	v_fmac_f64_e32 v[50:51], v[44:45], v[48:49]
	v_fma_f64 v[44:45], -v[42:43], v[42:43], v[22:23]
	v_fmac_f64_e32 v[16:17], v[18:19], v[34:35]
	v_fma_f64 v[18:19], -v[58:59], v[52:53], 0.5
	s_delay_alu instid0(VALU_DEP_3) | instskip(NEXT) | instid1(VALU_DEP_2)
	v_fmac_f64_e32 v[42:43], v[44:45], v[38:39]
	v_fmac_f64_e32 v[52:53], v[52:53], v[18:19]
	;; [unrolled: 1-line block ×3, first 2 shown]
	s_delay_alu instid0(VALU_DEP_2) | instskip(NEXT) | instid1(VALU_DEP_1)
	v_fma_f64 v[18:19], -v[52:53], v[52:53], v[28:29]
	v_fmac_f64_e32 v[52:53], v[18:19], v[58:59]
	v_fma_f64 v[18:19], -v[16:17], v[16:17], v[56:57]
	s_delay_alu instid0(VALU_DEP_1) | instskip(NEXT) | instid1(VALU_DEP_3)
	v_fmac_f64_e32 v[16:17], v[18:19], v[34:35]
	v_fma_f64 v[18:19], -v[52:53], v[52:53], v[28:29]
	v_fma_f64 v[34:35], -v[50:51], v[50:51], v[36:37]
	s_delay_alu instid0(VALU_DEP_3) | instskip(NEXT) | instid1(VALU_DEP_3)
	v_ldexp_f64 v[16:17], v[16:17], v30
	v_fmac_f64_e32 v[52:53], v[18:19], v[58:59]
	v_cndmask_b32_e64 v18, 0, 0xffffff80, s3
	v_cmp_class_f64_e64 s3, v[24:25], 0x260
	v_ldexp_f64 v[30:31], v[42:43], v31
	v_fmac_f64_e32 v[50:51], v[34:35], v[48:49]
	s_delay_alu instid0(VALU_DEP_4) | instskip(SKIP_2) | instid1(VALU_DEP_4)
	v_ldexp_f64 v[18:19], v[54:55], v18
	v_ldexp_f64 v[14:15], v[52:53], v32
	v_dual_cndmask_b32 v11, v11, v25, s3 :: v_dual_cndmask_b32 v10, v10, v24, s3
	v_ldexp_f64 v[32:33], v[50:51], v33
	s_delay_alu instid0(VALU_DEP_4) | instskip(NEXT) | instid1(VALU_DEP_3)
	v_dual_cndmask_b32 v3, v19, v21 :: v_dual_cndmask_b32 v2, v18, v20
	v_fmac_f64_e32 v[6:7], v[10:11], v[10:11]
	v_dual_cndmask_b32 v11, v27, v13, s2 :: v_dual_cndmask_b32 v10, v26, v12, s2
	s_mov_b64 s[2:3], 0x3f50624dd2f1a9fc
	v_dual_cndmask_b32 v13, v17, v57, s4 :: v_dual_cndmask_b32 v12, v16, v56, s4
	v_cmp_lt_f64_e64 s4, |v[8:9]|, s[2:3]
	v_dual_cndmask_b32 v17, v31, v23, s6 :: v_dual_cndmask_b32 v16, v30, v22, s6
	s_delay_alu instid0(VALU_DEP_3) | instskip(NEXT) | instid1(VALU_DEP_2)
	v_fmac_f64_e32 v[4:5], v[12:13], v[12:13]
	v_fma_f64 v[2:3], -v[2:3], v[10:11], v[16:17]
	v_dual_cndmask_b32 v11, v15, v29, s5 :: v_dual_cndmask_b32 v10, v14, v28, s5
	v_dual_cndmask_b32 v13, v33, v37, s7 :: v_dual_cndmask_b32 v12, v32, v36, s7
	s_delay_alu instid0(VALU_DEP_1) | instskip(SKIP_2) | instid1(VALU_DEP_1)
	v_add_f64_e64 v[10:11], v[10:11], -v[12:13]
	v_cndmask_b32_e64 v8, 0, 1, s4
	v_cmp_lt_f64_e64 s4, |v[6:7]|, s[2:3]
	v_cndmask_b32_e64 v6, 0, 1, s4
	v_cmp_lt_f64_e64 s4, |v[2:3]|, s[2:3]
	s_delay_alu instid0(VALU_DEP_2) | instskip(NEXT) | instid1(VALU_DEP_2)
	v_add_nc_u16 v6, v6, v8
	v_cndmask_b32_e64 v2, 0, 1, s4
	v_cmp_lt_f64_e64 s4, |v[4:5]|, s[2:3]
	v_cmp_lt_f64_e64 s2, |v[10:11]|, s[2:3]
	s_delay_alu instid0(VALU_DEP_3) | instskip(NEXT) | instid1(VALU_DEP_3)
	v_add_nc_u16 v2, v6, v2
	v_cndmask_b32_e64 v3, 0, 1, s4
	s_delay_alu instid0(VALU_DEP_3) | instskip(NEXT) | instid1(VALU_DEP_2)
	v_cndmask_b32_e64 v4, 0, 1, s2
	v_add_nc_u16 v2, v2, v3
	s_delay_alu instid0(VALU_DEP_1)
	v_add_nc_u16 v2, v2, v4
	global_store_b8 v[0:1], v2, off
.LBB3_8:
	s_endpgm
	.section	.rodata,"a",@progbits
	.p2align	6, 0x0
	.amdhsa_kernel _Z18ref_complex_doublePci
		.amdhsa_group_segment_fixed_size 0
		.amdhsa_private_segment_fixed_size 0
		.amdhsa_kernarg_size 272
		.amdhsa_user_sgpr_count 2
		.amdhsa_user_sgpr_dispatch_ptr 0
		.amdhsa_user_sgpr_queue_ptr 0
		.amdhsa_user_sgpr_kernarg_segment_ptr 1
		.amdhsa_user_sgpr_dispatch_id 0
		.amdhsa_user_sgpr_kernarg_preload_length 0
		.amdhsa_user_sgpr_kernarg_preload_offset 0
		.amdhsa_user_sgpr_private_segment_size 0
		.amdhsa_wavefront_size32 1
		.amdhsa_uses_dynamic_stack 0
		.amdhsa_enable_private_segment 0
		.amdhsa_system_sgpr_workgroup_id_x 1
		.amdhsa_system_sgpr_workgroup_id_y 0
		.amdhsa_system_sgpr_workgroup_id_z 0
		.amdhsa_system_sgpr_workgroup_info 0
		.amdhsa_system_vgpr_workitem_id 0
		.amdhsa_next_free_vgpr 62
		.amdhsa_next_free_sgpr 10
		.amdhsa_named_barrier_count 0
		.amdhsa_reserve_vcc 1
		.amdhsa_float_round_mode_32 0
		.amdhsa_float_round_mode_16_64 0
		.amdhsa_float_denorm_mode_32 3
		.amdhsa_float_denorm_mode_16_64 3
		.amdhsa_fp16_overflow 0
		.amdhsa_memory_ordered 1
		.amdhsa_forward_progress 1
		.amdhsa_inst_pref_size 19
		.amdhsa_round_robin_scheduling 0
		.amdhsa_exception_fp_ieee_invalid_op 0
		.amdhsa_exception_fp_denorm_src 0
		.amdhsa_exception_fp_ieee_div_zero 0
		.amdhsa_exception_fp_ieee_overflow 0
		.amdhsa_exception_fp_ieee_underflow 0
		.amdhsa_exception_fp_ieee_inexact 0
		.amdhsa_exception_int_div_zero 0
	.end_amdhsa_kernel
	.text
.Lfunc_end3:
	.size	_Z18ref_complex_doublePci, .Lfunc_end3-_Z18ref_complex_doublePci
                                        ; -- End function
	.set _Z18ref_complex_doublePci.num_vgpr, 62
	.set _Z18ref_complex_doublePci.num_agpr, 0
	.set _Z18ref_complex_doublePci.numbered_sgpr, 10
	.set _Z18ref_complex_doublePci.num_named_barrier, 0
	.set _Z18ref_complex_doublePci.private_seg_size, 0
	.set _Z18ref_complex_doublePci.uses_vcc, 1
	.set _Z18ref_complex_doublePci.uses_flat_scratch, 0
	.set _Z18ref_complex_doublePci.has_dyn_sized_stack, 0
	.set _Z18ref_complex_doublePci.has_recursion, 0
	.set _Z18ref_complex_doublePci.has_indirect_call, 0
	.section	.AMDGPU.csdata,"",@progbits
; Kernel info:
; codeLenInByte = 2364
; TotalNumSgprs: 12
; NumVgprs: 62
; ScratchSize: 0
; MemoryBound: 0
; FloatMode: 240
; IeeeMode: 1
; LDSByteSize: 0 bytes/workgroup (compile time only)
; SGPRBlocks: 0
; VGPRBlocks: 3
; NumSGPRsForWavesPerEU: 12
; NumVGPRsForWavesPerEU: 62
; NamedBarCnt: 0
; Occupancy: 16
; WaveLimiterHint : 0
; COMPUTE_PGM_RSRC2:SCRATCH_EN: 0
; COMPUTE_PGM_RSRC2:USER_SGPR: 2
; COMPUTE_PGM_RSRC2:TRAP_HANDLER: 0
; COMPUTE_PGM_RSRC2:TGID_X_EN: 1
; COMPUTE_PGM_RSRC2:TGID_Y_EN: 0
; COMPUTE_PGM_RSRC2:TGID_Z_EN: 0
; COMPUTE_PGM_RSRC2:TIDIG_COMP_CNT: 0
	.text
	.p2alignl 7, 3214868480
	.fill 96, 4, 3214868480
	.section	.AMDGPU.gpr_maximums,"",@progbits
	.set amdgpu.max_num_vgpr, 0
	.set amdgpu.max_num_agpr, 0
	.set amdgpu.max_num_sgpr, 0
	.text
	.type	__hip_cuid_6e2c67a2eee2707c,@object ; @__hip_cuid_6e2c67a2eee2707c
	.section	.bss,"aw",@nobits
	.globl	__hip_cuid_6e2c67a2eee2707c
__hip_cuid_6e2c67a2eee2707c:
	.byte	0                               ; 0x0
	.size	__hip_cuid_6e2c67a2eee2707c, 1

	.ident	"AMD clang version 22.0.0git (https://github.com/RadeonOpenCompute/llvm-project roc-7.2.4 26084 f58b06dce1f9c15707c5f808fd002e18c2accf7e)"
	.section	".note.GNU-stack","",@progbits
	.addrsig
	.addrsig_sym __hip_cuid_6e2c67a2eee2707c
	.amdgpu_metadata
---
amdhsa.kernels:
  - .args:
      - .address_space:  global
        .offset:         0
        .size:           8
        .value_kind:     global_buffer
      - .offset:         8
        .size:           4
        .value_kind:     by_value
      - .offset:         16
        .size:           4
        .value_kind:     hidden_block_count_x
      - .offset:         20
        .size:           4
        .value_kind:     hidden_block_count_y
      - .offset:         24
        .size:           4
        .value_kind:     hidden_block_count_z
      - .offset:         28
        .size:           2
        .value_kind:     hidden_group_size_x
      - .offset:         30
        .size:           2
        .value_kind:     hidden_group_size_y
      - .offset:         32
        .size:           2
        .value_kind:     hidden_group_size_z
      - .offset:         34
        .size:           2
        .value_kind:     hidden_remainder_x
      - .offset:         36
        .size:           2
        .value_kind:     hidden_remainder_y
      - .offset:         38
        .size:           2
        .value_kind:     hidden_remainder_z
      - .offset:         56
        .size:           8
        .value_kind:     hidden_global_offset_x
      - .offset:         64
        .size:           8
        .value_kind:     hidden_global_offset_y
      - .offset:         72
        .size:           8
        .value_kind:     hidden_global_offset_z
      - .offset:         80
        .size:           2
        .value_kind:     hidden_grid_dims
    .group_segment_fixed_size: 0
    .kernarg_segment_align: 8
    .kernarg_segment_size: 272
    .language:       OpenCL C
    .language_version:
      - 2
      - 0
    .max_flat_workgroup_size: 1024
    .name:           _Z13complex_floatPci
    .private_segment_fixed_size: 0
    .sgpr_count:     22
    .sgpr_spill_count: 0
    .symbol:         _Z13complex_floatPci.kd
    .uniform_work_group_size: 1
    .uses_dynamic_stack: false
    .vgpr_count:     56
    .vgpr_spill_count: 0
    .wavefront_size: 32
  - .args:
      - .address_space:  global
        .offset:         0
        .size:           8
        .value_kind:     global_buffer
      - .offset:         8
        .size:           4
        .value_kind:     by_value
      - .offset:         16
        .size:           4
        .value_kind:     hidden_block_count_x
      - .offset:         20
        .size:           4
        .value_kind:     hidden_block_count_y
      - .offset:         24
        .size:           4
        .value_kind:     hidden_block_count_z
      - .offset:         28
        .size:           2
        .value_kind:     hidden_group_size_x
      - .offset:         30
        .size:           2
        .value_kind:     hidden_group_size_y
      - .offset:         32
        .size:           2
        .value_kind:     hidden_group_size_z
      - .offset:         34
        .size:           2
        .value_kind:     hidden_remainder_x
      - .offset:         36
        .size:           2
        .value_kind:     hidden_remainder_y
      - .offset:         38
        .size:           2
        .value_kind:     hidden_remainder_z
      - .offset:         56
        .size:           8
        .value_kind:     hidden_global_offset_x
      - .offset:         64
        .size:           8
        .value_kind:     hidden_global_offset_y
      - .offset:         72
        .size:           8
        .value_kind:     hidden_global_offset_z
      - .offset:         80
        .size:           2
        .value_kind:     hidden_grid_dims
    .group_segment_fixed_size: 0
    .kernarg_segment_align: 8
    .kernarg_segment_size: 272
    .language:       OpenCL C
    .language_version:
      - 2
      - 0
    .max_flat_workgroup_size: 1024
    .name:           _Z14complex_doublePci
    .private_segment_fixed_size: 0
    .sgpr_count:     12
    .sgpr_spill_count: 0
    .symbol:         _Z14complex_doublePci.kd
    .uniform_work_group_size: 1
    .uses_dynamic_stack: false
    .vgpr_count:     38
    .vgpr_spill_count: 0
    .wavefront_size: 32
  - .args:
      - .address_space:  global
        .offset:         0
        .size:           8
        .value_kind:     global_buffer
      - .offset:         8
        .size:           4
        .value_kind:     by_value
      - .offset:         16
        .size:           4
        .value_kind:     hidden_block_count_x
      - .offset:         20
        .size:           4
        .value_kind:     hidden_block_count_y
      - .offset:         24
        .size:           4
        .value_kind:     hidden_block_count_z
      - .offset:         28
        .size:           2
        .value_kind:     hidden_group_size_x
      - .offset:         30
        .size:           2
        .value_kind:     hidden_group_size_y
      - .offset:         32
        .size:           2
        .value_kind:     hidden_group_size_z
      - .offset:         34
        .size:           2
        .value_kind:     hidden_remainder_x
      - .offset:         36
        .size:           2
        .value_kind:     hidden_remainder_y
      - .offset:         38
        .size:           2
        .value_kind:     hidden_remainder_z
      - .offset:         56
        .size:           8
        .value_kind:     hidden_global_offset_x
      - .offset:         64
        .size:           8
        .value_kind:     hidden_global_offset_y
      - .offset:         72
        .size:           8
        .value_kind:     hidden_global_offset_z
      - .offset:         80
        .size:           2
        .value_kind:     hidden_grid_dims
    .group_segment_fixed_size: 0
    .kernarg_segment_align: 8
    .kernarg_segment_size: 272
    .language:       OpenCL C
    .language_version:
      - 2
      - 0
    .max_flat_workgroup_size: 1024
    .name:           _Z17ref_complex_floatPci
    .private_segment_fixed_size: 0
    .sgpr_count:     12
    .sgpr_spill_count: 0
    .symbol:         _Z17ref_complex_floatPci.kd
    .uniform_work_group_size: 1
    .uses_dynamic_stack: false
    .vgpr_count:     49
    .vgpr_spill_count: 0
    .wavefront_size: 32
  - .args:
      - .address_space:  global
        .offset:         0
        .size:           8
        .value_kind:     global_buffer
      - .offset:         8
        .size:           4
        .value_kind:     by_value
      - .offset:         16
        .size:           4
        .value_kind:     hidden_block_count_x
      - .offset:         20
        .size:           4
        .value_kind:     hidden_block_count_y
      - .offset:         24
        .size:           4
        .value_kind:     hidden_block_count_z
      - .offset:         28
        .size:           2
        .value_kind:     hidden_group_size_x
      - .offset:         30
        .size:           2
        .value_kind:     hidden_group_size_y
      - .offset:         32
        .size:           2
        .value_kind:     hidden_group_size_z
      - .offset:         34
        .size:           2
        .value_kind:     hidden_remainder_x
      - .offset:         36
        .size:           2
        .value_kind:     hidden_remainder_y
      - .offset:         38
        .size:           2
        .value_kind:     hidden_remainder_z
      - .offset:         56
        .size:           8
        .value_kind:     hidden_global_offset_x
      - .offset:         64
        .size:           8
        .value_kind:     hidden_global_offset_y
      - .offset:         72
        .size:           8
        .value_kind:     hidden_global_offset_z
      - .offset:         80
        .size:           2
        .value_kind:     hidden_grid_dims
    .group_segment_fixed_size: 0
    .kernarg_segment_align: 8
    .kernarg_segment_size: 272
    .language:       OpenCL C
    .language_version:
      - 2
      - 0
    .max_flat_workgroup_size: 1024
    .name:           _Z18ref_complex_doublePci
    .private_segment_fixed_size: 0
    .sgpr_count:     12
    .sgpr_spill_count: 0
    .symbol:         _Z18ref_complex_doublePci.kd
    .uniform_work_group_size: 1
    .uses_dynamic_stack: false
    .vgpr_count:     62
    .vgpr_spill_count: 0
    .wavefront_size: 32
amdhsa.target:   amdgcn-amd-amdhsa--gfx1250
amdhsa.version:
  - 1
  - 2
...

	.end_amdgpu_metadata
